;; amdgpu-corpus repo=ROCm/rocFFT kind=compiled arch=gfx906 opt=O3
	.text
	.amdgcn_target "amdgcn-amd-amdhsa--gfx906"
	.amdhsa_code_object_version 6
	.protected	fft_rtc_fwd_len338_factors_13_2_13_wgs_52_tpt_26_halfLds_dp_op_CI_CI_unitstride_sbrr_dirReg ; -- Begin function fft_rtc_fwd_len338_factors_13_2_13_wgs_52_tpt_26_halfLds_dp_op_CI_CI_unitstride_sbrr_dirReg
	.globl	fft_rtc_fwd_len338_factors_13_2_13_wgs_52_tpt_26_halfLds_dp_op_CI_CI_unitstride_sbrr_dirReg
	.p2align	8
	.type	fft_rtc_fwd_len338_factors_13_2_13_wgs_52_tpt_26_halfLds_dp_op_CI_CI_unitstride_sbrr_dirReg,@function
fft_rtc_fwd_len338_factors_13_2_13_wgs_52_tpt_26_halfLds_dp_op_CI_CI_unitstride_sbrr_dirReg: ; @fft_rtc_fwd_len338_factors_13_2_13_wgs_52_tpt_26_halfLds_dp_op_CI_CI_unitstride_sbrr_dirReg
; %bb.0:
	s_load_dwordx4 s[8:11], s[4:5], 0x58
	s_load_dwordx4 s[12:15], s[4:5], 0x0
	;; [unrolled: 1-line block ×3, first 2 shown]
	v_mul_u32_u24_e32 v1, 0x9d9, v0
	v_lshrrev_b32_e32 v28, 16, v1
	v_mov_b32_e32 v1, 0
	s_waitcnt lgkmcnt(0)
	v_cmp_lt_u64_e64 s[0:1], s[14:15], 2
	v_mov_b32_e32 v4, 0
	v_lshl_add_u32 v6, s6, 1, v28
	v_mov_b32_e32 v7, v1
	s_and_b64 vcc, exec, s[0:1]
	v_mov_b32_e32 v5, 0
	s_cbranch_vccnz .LBB0_8
; %bb.1:
	s_load_dwordx2 s[0:1], s[4:5], 0x10
	s_add_u32 s2, s18, 8
	s_addc_u32 s3, s19, 0
	s_add_u32 s6, s16, 8
	v_mov_b32_e32 v4, 0
	s_addc_u32 s7, s17, 0
	v_mov_b32_e32 v5, 0
	s_waitcnt lgkmcnt(0)
	s_add_u32 s20, s0, 8
	v_mov_b32_e32 v77, v5
	s_addc_u32 s21, s1, 0
	s_mov_b64 s[22:23], 1
	v_mov_b32_e32 v76, v4
.LBB0_2:                                ; =>This Inner Loop Header: Depth=1
	s_load_dwordx2 s[24:25], s[20:21], 0x0
                                        ; implicit-def: $vgpr78_vgpr79
	s_waitcnt lgkmcnt(0)
	v_or_b32_e32 v2, s25, v7
	v_cmp_ne_u64_e32 vcc, 0, v[1:2]
	s_and_saveexec_b64 s[0:1], vcc
	s_xor_b64 s[26:27], exec, s[0:1]
	s_cbranch_execz .LBB0_4
; %bb.3:                                ;   in Loop: Header=BB0_2 Depth=1
	v_cvt_f32_u32_e32 v2, s24
	v_cvt_f32_u32_e32 v3, s25
	s_sub_u32 s0, 0, s24
	s_subb_u32 s1, 0, s25
	v_mac_f32_e32 v2, 0x4f800000, v3
	v_rcp_f32_e32 v2, v2
	v_mul_f32_e32 v2, 0x5f7ffffc, v2
	v_mul_f32_e32 v3, 0x2f800000, v2
	v_trunc_f32_e32 v3, v3
	v_mac_f32_e32 v2, 0xcf800000, v3
	v_cvt_u32_f32_e32 v3, v3
	v_cvt_u32_f32_e32 v2, v2
	v_mul_lo_u32 v8, s0, v3
	v_mul_hi_u32 v9, s0, v2
	v_mul_lo_u32 v11, s1, v2
	v_mul_lo_u32 v10, s0, v2
	v_add_u32_e32 v8, v9, v8
	v_add_u32_e32 v8, v8, v11
	v_mul_hi_u32 v9, v2, v10
	v_mul_lo_u32 v11, v2, v8
	v_mul_hi_u32 v13, v2, v8
	v_mul_hi_u32 v12, v3, v10
	v_mul_lo_u32 v10, v3, v10
	v_mul_hi_u32 v14, v3, v8
	v_add_co_u32_e32 v9, vcc, v9, v11
	v_addc_co_u32_e32 v11, vcc, 0, v13, vcc
	v_mul_lo_u32 v8, v3, v8
	v_add_co_u32_e32 v9, vcc, v9, v10
	v_addc_co_u32_e32 v9, vcc, v11, v12, vcc
	v_addc_co_u32_e32 v10, vcc, 0, v14, vcc
	v_add_co_u32_e32 v8, vcc, v9, v8
	v_addc_co_u32_e32 v9, vcc, 0, v10, vcc
	v_add_co_u32_e32 v2, vcc, v2, v8
	v_addc_co_u32_e32 v3, vcc, v3, v9, vcc
	v_mul_lo_u32 v8, s0, v3
	v_mul_hi_u32 v9, s0, v2
	v_mul_lo_u32 v10, s1, v2
	v_mul_lo_u32 v11, s0, v2
	v_add_u32_e32 v8, v9, v8
	v_add_u32_e32 v8, v8, v10
	v_mul_lo_u32 v12, v2, v8
	v_mul_hi_u32 v13, v2, v11
	v_mul_hi_u32 v14, v2, v8
	;; [unrolled: 1-line block ×3, first 2 shown]
	v_mul_lo_u32 v11, v3, v11
	v_mul_hi_u32 v9, v3, v8
	v_add_co_u32_e32 v12, vcc, v13, v12
	v_addc_co_u32_e32 v13, vcc, 0, v14, vcc
	v_mul_lo_u32 v8, v3, v8
	v_add_co_u32_e32 v11, vcc, v12, v11
	v_addc_co_u32_e32 v10, vcc, v13, v10, vcc
	v_addc_co_u32_e32 v9, vcc, 0, v9, vcc
	v_add_co_u32_e32 v8, vcc, v10, v8
	v_addc_co_u32_e32 v9, vcc, 0, v9, vcc
	v_add_co_u32_e32 v8, vcc, v2, v8
	v_addc_co_u32_e32 v9, vcc, v3, v9, vcc
	v_mad_u64_u32 v[2:3], s[0:1], v6, v9, 0
	v_mul_hi_u32 v10, v6, v8
	v_add_co_u32_e32 v10, vcc, v10, v2
	v_addc_co_u32_e32 v11, vcc, 0, v3, vcc
	v_mad_u64_u32 v[2:3], s[0:1], v7, v8, 0
	v_mad_u64_u32 v[8:9], s[0:1], v7, v9, 0
	v_add_co_u32_e32 v2, vcc, v10, v2
	v_addc_co_u32_e32 v2, vcc, v11, v3, vcc
	v_addc_co_u32_e32 v3, vcc, 0, v9, vcc
	v_add_co_u32_e32 v8, vcc, v2, v8
	v_addc_co_u32_e32 v9, vcc, 0, v3, vcc
	v_mul_lo_u32 v10, s25, v8
	v_mul_lo_u32 v11, s24, v9
	v_mad_u64_u32 v[2:3], s[0:1], s24, v8, 0
	v_add3_u32 v3, v3, v11, v10
	v_sub_u32_e32 v10, v7, v3
	v_mov_b32_e32 v11, s25
	v_sub_co_u32_e32 v2, vcc, v6, v2
	v_subb_co_u32_e64 v10, s[0:1], v10, v11, vcc
	v_subrev_co_u32_e64 v11, s[0:1], s24, v2
	v_subbrev_co_u32_e64 v10, s[0:1], 0, v10, s[0:1]
	v_cmp_le_u32_e64 s[0:1], s25, v10
	v_cndmask_b32_e64 v12, 0, -1, s[0:1]
	v_cmp_le_u32_e64 s[0:1], s24, v11
	v_cndmask_b32_e64 v11, 0, -1, s[0:1]
	v_cmp_eq_u32_e64 s[0:1], s25, v10
	v_cndmask_b32_e64 v10, v12, v11, s[0:1]
	v_add_co_u32_e64 v11, s[0:1], 2, v8
	v_addc_co_u32_e64 v12, s[0:1], 0, v9, s[0:1]
	v_add_co_u32_e64 v13, s[0:1], 1, v8
	v_addc_co_u32_e64 v14, s[0:1], 0, v9, s[0:1]
	v_subb_co_u32_e32 v3, vcc, v7, v3, vcc
	v_cmp_ne_u32_e64 s[0:1], 0, v10
	v_cmp_le_u32_e32 vcc, s25, v3
	v_cndmask_b32_e64 v10, v14, v12, s[0:1]
	v_cndmask_b32_e64 v12, 0, -1, vcc
	v_cmp_le_u32_e32 vcc, s24, v2
	v_cndmask_b32_e64 v2, 0, -1, vcc
	v_cmp_eq_u32_e32 vcc, s25, v3
	v_cndmask_b32_e32 v2, v12, v2, vcc
	v_cmp_ne_u32_e32 vcc, 0, v2
	v_cndmask_b32_e64 v2, v13, v11, s[0:1]
	v_cndmask_b32_e32 v79, v9, v10, vcc
	v_cndmask_b32_e32 v78, v8, v2, vcc
.LBB0_4:                                ;   in Loop: Header=BB0_2 Depth=1
	s_andn2_saveexec_b64 s[0:1], s[26:27]
	s_cbranch_execz .LBB0_6
; %bb.5:                                ;   in Loop: Header=BB0_2 Depth=1
	v_cvt_f32_u32_e32 v2, s24
	s_sub_i32 s26, 0, s24
	v_mov_b32_e32 v79, v1
	v_rcp_iflag_f32_e32 v2, v2
	v_mul_f32_e32 v2, 0x4f7ffffe, v2
	v_cvt_u32_f32_e32 v2, v2
	v_mul_lo_u32 v3, s26, v2
	v_mul_hi_u32 v3, v2, v3
	v_add_u32_e32 v2, v2, v3
	v_mul_hi_u32 v2, v6, v2
	v_mul_lo_u32 v3, v2, s24
	v_add_u32_e32 v8, 1, v2
	v_sub_u32_e32 v3, v6, v3
	v_subrev_u32_e32 v9, s24, v3
	v_cmp_le_u32_e32 vcc, s24, v3
	v_cndmask_b32_e32 v3, v3, v9, vcc
	v_cndmask_b32_e32 v2, v2, v8, vcc
	v_add_u32_e32 v8, 1, v2
	v_cmp_le_u32_e32 vcc, s24, v3
	v_cndmask_b32_e32 v78, v2, v8, vcc
.LBB0_6:                                ;   in Loop: Header=BB0_2 Depth=1
	s_or_b64 exec, exec, s[0:1]
	v_mul_lo_u32 v8, v79, s24
	v_mul_lo_u32 v9, v78, s25
	v_mad_u64_u32 v[2:3], s[0:1], v78, s24, 0
	s_load_dwordx2 s[0:1], s[6:7], 0x0
	s_load_dwordx2 s[24:25], s[2:3], 0x0
	v_add3_u32 v3, v3, v9, v8
	v_sub_co_u32_e32 v2, vcc, v6, v2
	v_subb_co_u32_e32 v3, vcc, v7, v3, vcc
	s_waitcnt lgkmcnt(0)
	v_mul_lo_u32 v6, s0, v3
	v_mul_lo_u32 v7, s1, v2
	v_mad_u64_u32 v[4:5], s[0:1], s0, v2, v[4:5]
	v_mul_lo_u32 v3, s24, v3
	v_mul_lo_u32 v8, s25, v2
	v_mad_u64_u32 v[76:77], s[0:1], s24, v2, v[76:77]
	s_add_u32 s22, s22, 1
	s_addc_u32 s23, s23, 0
	s_add_u32 s2, s2, 8
	v_add3_u32 v77, v8, v77, v3
	s_addc_u32 s3, s3, 0
	v_mov_b32_e32 v2, s14
	s_add_u32 s6, s6, 8
	v_mov_b32_e32 v3, s15
	s_addc_u32 s7, s7, 0
	v_cmp_ge_u64_e32 vcc, s[22:23], v[2:3]
	s_add_u32 s20, s20, 8
	v_add3_u32 v5, v7, v5, v6
	s_addc_u32 s21, s21, 0
	s_cbranch_vccnz .LBB0_9
; %bb.7:                                ;   in Loop: Header=BB0_2 Depth=1
	v_mov_b32_e32 v6, v78
	v_mov_b32_e32 v7, v79
	s_branch .LBB0_2
.LBB0_8:
	v_mov_b32_e32 v77, v5
	v_mov_b32_e32 v79, v7
	;; [unrolled: 1-line block ×4, first 2 shown]
.LBB0_9:
	s_load_dwordx2 s[0:1], s[4:5], 0x28
	s_lshl_b64 s[6:7], s[14:15], 3
	s_add_u32 s2, s18, s6
	s_addc_u32 s3, s19, s7
                                        ; implicit-def: $sgpr14_sgpr15
                                        ; implicit-def: $vgpr82
	s_waitcnt lgkmcnt(0)
	v_cmp_gt_u64_e32 vcc, s[0:1], v[78:79]
	v_cmp_le_u64_e64 s[0:1], s[0:1], v[78:79]
	s_and_saveexec_b64 s[4:5], s[0:1]
	s_xor_b64 s[0:1], exec, s[4:5]
; %bb.10:
	s_mov_b32 s4, 0x9d89d8a
	v_mul_hi_u32 v1, v0, s4
	s_mov_b64 s[14:15], 0
                                        ; implicit-def: $vgpr4_vgpr5
	v_mul_u32_u24_e32 v1, 26, v1
	v_sub_u32_e32 v82, v0, v1
                                        ; implicit-def: $vgpr0
; %bb.11:
	s_or_saveexec_b64 s[4:5], s[0:1]
	v_mov_b32_e32 v81, s15
	v_mov_b32_e32 v80, s14
                                        ; implicit-def: $vgpr54_vgpr55
                                        ; implicit-def: $vgpr50_vgpr51
                                        ; implicit-def: $vgpr42_vgpr43
                                        ; implicit-def: $vgpr22_vgpr23
                                        ; implicit-def: $vgpr14_vgpr15
                                        ; implicit-def: $vgpr6_vgpr7
                                        ; implicit-def: $vgpr2_vgpr3
                                        ; implicit-def: $vgpr10_vgpr11
                                        ; implicit-def: $vgpr18_vgpr19
                                        ; implicit-def: $vgpr26_vgpr27
                                        ; implicit-def: $vgpr34_vgpr35
                                        ; implicit-def: $vgpr46_vgpr47
                                        ; implicit-def: $vgpr38_vgpr39
	s_xor_b64 exec, exec, s[4:5]
	s_cbranch_execz .LBB0_13
; %bb.12:
	s_add_u32 s0, s16, s6
	s_addc_u32 s1, s17, s7
	s_load_dwordx2 s[0:1], s[0:1], 0x0
	s_mov_b32 s6, 0x9d89d8a
	v_mul_hi_u32 v3, v0, s6
	v_mov_b32_e32 v83, 0
	s_waitcnt lgkmcnt(0)
	v_mul_lo_u32 v6, s1, v78
	v_mul_lo_u32 v7, s0, v79
	v_mad_u64_u32 v[1:2], s[0:1], s0, v78, 0
	v_mul_u32_u24_e32 v3, 26, v3
	v_sub_u32_e32 v82, v0, v3
	v_add3_u32 v2, v2, v7, v6
	v_lshlrev_b64 v[0:1], 4, v[1:2]
	v_mov_b32_e32 v2, s9
	v_add_co_u32_e64 v3, s[0:1], s8, v0
	v_addc_co_u32_e64 v2, s[0:1], v2, v1, s[0:1]
	v_lshlrev_b64 v[0:1], 4, v[4:5]
	v_mov_b32_e32 v80, v82
	v_add_co_u32_e64 v0, s[0:1], v3, v0
	v_addc_co_u32_e64 v1, s[0:1], v2, v1, s[0:1]
	v_lshlrev_b32_e32 v2, 4, v82
	v_add_co_u32_e64 v29, s[0:1], v0, v2
	v_addc_co_u32_e64 v30, s[0:1], 0, v1, s[0:1]
	s_movk_i32 s0, 0x1000
	v_add_co_u32_e64 v56, s[0:1], s0, v29
	global_load_dwordx4 v[36:39], v[29:30], off
	global_load_dwordx4 v[44:47], v[29:30], off offset:416
	global_load_dwordx4 v[32:35], v[29:30], off offset:832
	global_load_dwordx4 v[24:27], v[29:30], off offset:1248
	global_load_dwordx4 v[16:19], v[29:30], off offset:1664
	global_load_dwordx4 v[8:11], v[29:30], off offset:2080
	v_addc_co_u32_e64 v57, s[0:1], 0, v30, s[0:1]
	global_load_dwordx4 v[0:3], v[29:30], off offset:2496
	global_load_dwordx4 v[4:7], v[29:30], off offset:2912
	;; [unrolled: 1-line block ×7, first 2 shown]
	v_mov_b32_e32 v81, v83
.LBB0_13:
	s_or_b64 exec, exec, s[4:5]
	s_waitcnt vmcnt(11)
	v_add_f64 v[29:30], v[44:45], v[36:37]
	v_and_b32_e32 v62, 1, v28
	s_waitcnt vmcnt(0)
	v_add_f64 v[56:57], v[52:53], v[44:45]
	s_load_dwordx2 s[4:5], s[2:3], 0x0
	s_mov_b32 s8, 0xe00740e9
	s_mov_b32 s14, 0x1ea71119
	;; [unrolled: 1-line block ×4, first 2 shown]
	v_add_f64 v[28:29], v[32:33], v[29:30]
	s_mov_b32 s24, 0xd0032e0c
	s_mov_b32 s28, 0x93053d00
	v_mov_b32_e32 v63, 0x152
	s_mov_b32 s9, 0x3fec55a7
	s_mov_b32 s15, 0x3fe22d96
	s_mov_b32 s3, 0x3fbedb7d
	s_mov_b32 s19, 0xbfd6b1d8
	v_add_f64 v[28:29], v[24:25], v[28:29]
	s_mov_b32 s25, 0xbfe7f3cc
	s_mov_b32 s29, 0xbfef11f4
	v_cmp_eq_u32_e64 s[0:1], 1, v62
	v_add_f64 v[58:59], v[46:47], -v[54:55]
	v_add_f64 v[30:31], v[48:49], v[32:33]
	v_cndmask_b32_e64 v91, 0, v63, s[0:1]
	v_mul_f64 v[62:63], v[56:57], s[8:9]
	v_add_f64 v[28:29], v[16:17], v[28:29]
	v_mul_f64 v[64:65], v[56:57], s[14:15]
	v_mul_f64 v[66:67], v[56:57], s[2:3]
	;; [unrolled: 1-line block ×5, first 2 shown]
	s_mov_b32 s20, 0x4267c47c
	s_mov_b32 s16, 0x42a4c3d2
	v_add_f64 v[28:29], v[8:9], v[28:29]
	s_mov_b32 s6, 0x66966769
	s_mov_b32 s42, 0x2ef20147
	s_mov_b32 s40, 0x24c2f84
	s_mov_b32 s36, 0x4bc48dbf
	s_mov_b32 s21, 0x3fddbe06
	s_mov_b32 s45, 0xbfddbe06
	s_mov_b32 s17, 0x3fea55e2
	v_add_f64 v[28:29], v[0:1], v[28:29]
	s_mov_b32 s35, 0xbfea55e2
	s_mov_b32 s7, 0x3fefc445
	s_mov_b32 s39, 0xbfefc445
	s_mov_b32 s43, 0x3fedeba7
	s_mov_b32 s23, 0xbfedeba7
	;; [unrolled: 8-line block ×3, first 2 shown]
	s_mov_b32 s22, s42
	s_mov_b32 s26, s40
	v_add_f64 v[28:29], v[12:13], v[28:29]
	s_mov_b32 s30, s36
	v_add_f64 v[60:61], v[34:35], -v[50:51]
	v_mul_f64 v[72:73], v[30:31], s[14:15]
	v_mul_f64 v[74:75], v[30:31], s[18:19]
	v_fma_f64 v[85:86], v[58:59], s[20:21], v[62:63]
	v_fma_f64 v[62:63], v[58:59], s[44:45], v[62:63]
	;; [unrolled: 1-line block ×3, first 2 shown]
	v_add_f64 v[28:29], v[20:21], v[28:29]
	v_fma_f64 v[64:65], v[58:59], s[34:35], v[64:65]
	v_fma_f64 v[89:90], v[58:59], s[6:7], v[66:67]
	;; [unrolled: 1-line block ×7, first 2 shown]
	v_add_f64 v[28:29], v[40:41], v[28:29]
	v_fma_f64 v[96:97], v[58:59], s[36:37], v[56:57]
	v_fma_f64 v[56:57], v[58:59], s[30:31], v[56:57]
	v_mul_f64 v[83:84], v[30:31], s[28:29]
	v_fma_f64 v[58:59], v[60:61], s[16:17], v[72:73]
	v_add_f64 v[85:86], v[36:37], v[85:86]
	v_add_f64 v[62:63], v[36:37], v[62:63]
	v_add_f64 v[87:88], v[36:37], v[87:88]
	v_add_f64 v[28:29], v[48:49], v[28:29]
	v_add_f64 v[64:65], v[36:37], v[64:65]
	v_add_f64 v[89:90], v[36:37], v[89:90]
	v_add_f64 v[66:67], v[36:37], v[66:67]
	v_add_f64 v[92:93], v[36:37], v[92:93]
	v_add_f64 v[68:69], v[36:37], v[68:69]
	v_add_f64 v[94:95], v[36:37], v[94:95]
	v_add_f64 v[70:71], v[36:37], v[70:71]
	v_add_f64 v[98:99], v[52:53], v[28:29]
	v_fma_f64 v[28:29], v[60:61], s[34:35], v[72:73]
	v_fma_f64 v[72:73], v[60:61], s[42:43], v[74:75]
	v_add_f64 v[96:97], v[36:37], v[96:97]
	v_add_f64 v[36:37], v[36:37], v[56:57]
	v_fma_f64 v[56:57], v[60:61], s[22:23], v[74:75]
	v_mul_f64 v[74:75], v[30:31], s[24:25]
	v_add_f64 v[58:59], v[58:59], v[85:86]
	v_fma_f64 v[85:86], v[60:61], s[36:37], v[83:84]
	v_add_f64 v[28:29], v[28:29], v[62:63]
	v_add_f64 v[62:63], v[72:73], v[87:88]
	v_fma_f64 v[72:73], v[60:61], s[30:31], v[83:84]
	v_mul_f64 v[83:84], v[30:31], s[2:3]
	v_add_f64 v[56:57], v[56:57], v[64:65]
	v_add_f64 v[64:65], v[40:41], v[24:25]
	v_fma_f64 v[87:88], v[60:61], s[26:27], v[74:75]
	v_fma_f64 v[74:75], v[60:61], s[40:41], v[74:75]
	v_mul_f64 v[30:31], v[30:31], s[8:9]
	v_add_f64 v[85:86], v[85:86], v[89:90]
	v_add_f64 v[66:67], v[72:73], v[66:67]
	v_fma_f64 v[72:73], v[60:61], s[38:39], v[83:84]
	v_add_f64 v[89:90], v[26:27], -v[42:43]
	v_mul_f64 v[100:101], v[64:65], s[2:3]
	v_add_f64 v[87:88], v[87:88], v[92:93]
	v_fma_f64 v[83:84], v[60:61], s[6:7], v[83:84]
	v_add_f64 v[68:69], v[74:75], v[68:69]
	v_fma_f64 v[74:75], v[60:61], s[44:45], v[30:31]
	v_mul_f64 v[92:93], v[64:65], s[28:29]
	v_fma_f64 v[30:31], v[60:61], s[20:21], v[30:31]
	v_add_f64 v[60:61], v[72:73], v[94:95]
	v_fma_f64 v[72:73], v[89:90], s[6:7], v[100:101]
	v_mul_f64 v[94:95], v[64:65], s[18:19]
	v_add_f64 v[70:71], v[83:84], v[70:71]
	v_fma_f64 v[83:84], v[89:90], s[38:39], v[100:101]
	v_add_f64 v[74:75], v[74:75], v[96:97]
	v_fma_f64 v[96:97], v[89:90], s[36:37], v[92:93]
	;; [unrolled: 2-line block ×4, first 2 shown]
	v_mul_f64 v[92:93], v[64:65], s[8:9]
	v_add_f64 v[28:29], v[83:84], v[28:29]
	v_fma_f64 v[83:84], v[89:90], s[42:43], v[94:95]
	v_mul_f64 v[94:95], v[64:65], s[14:15]
	v_mul_f64 v[64:65], v[64:65], s[24:25]
	v_add_f64 v[36:37], v[36:37], v[56:57]
	v_add_f64 v[56:57], v[20:21], v[16:17]
	;; [unrolled: 1-line block ×3, first 2 shown]
	v_fma_f64 v[85:86], v[89:90], s[44:45], v[92:93]
	v_fma_f64 v[92:93], v[89:90], s[20:21], v[92:93]
	v_add_f64 v[62:63], v[96:97], v[62:63]
	v_add_f64 v[66:67], v[83:84], v[66:67]
	v_fma_f64 v[83:84], v[89:90], s[16:17], v[94:95]
	v_add_f64 v[96:97], v[18:19], -v[22:23]
	v_mul_f64 v[100:101], v[56:57], s[18:19]
	v_fma_f64 v[94:95], v[89:90], s[34:35], v[94:95]
	v_add_f64 v[85:86], v[85:86], v[87:88]
	v_add_f64 v[68:69], v[92:93], v[68:69]
	v_mul_f64 v[87:88], v[56:57], s[24:25]
	v_fma_f64 v[92:93], v[89:90], s[40:41], v[64:65]
	v_fma_f64 v[64:65], v[89:90], s[26:27], v[64:65]
	v_add_f64 v[60:61], v[83:84], v[60:61]
	v_fma_f64 v[83:84], v[96:97], s[42:43], v[100:101]
	v_mul_f64 v[89:90], v[56:57], s[8:9]
	v_add_f64 v[70:71], v[94:95], v[70:71]
	v_fma_f64 v[94:95], v[96:97], s[22:23], v[100:101]
	v_fma_f64 v[100:101], v[96:97], s[26:27], v[87:88]
	v_add_f64 v[74:75], v[92:93], v[74:75]
	v_add_f64 v[30:31], v[64:65], v[30:31]
	v_fma_f64 v[64:65], v[96:97], s[40:41], v[87:88]
	v_add_f64 v[58:59], v[83:84], v[58:59]
	v_mul_f64 v[83:84], v[56:57], s[2:3]
	v_fma_f64 v[87:88], v[96:97], s[44:45], v[89:90]
	v_fma_f64 v[89:90], v[96:97], s[20:21], v[89:90]
	v_mul_f64 v[92:93], v[56:57], s[28:29]
	v_add_f64 v[28:29], v[94:95], v[28:29]
	v_mul_f64 v[56:57], v[56:57], s[14:15]
	v_add_f64 v[36:37], v[64:65], v[36:37]
	v_add_f64 v[64:65], v[12:13], v[8:9]
	v_fma_f64 v[94:95], v[96:97], s[6:7], v[83:84]
	v_fma_f64 v[83:84], v[96:97], s[38:39], v[83:84]
	v_add_f64 v[62:63], v[100:101], v[62:63]
	v_add_f64 v[72:73], v[87:88], v[72:73]
	;; [unrolled: 1-line block ×3, first 2 shown]
	v_fma_f64 v[87:88], v[96:97], s[30:31], v[92:93]
	v_add_f64 v[89:90], v[10:11], -v[14:15]
	v_mul_f64 v[100:101], v[64:65], s[24:25]
	v_add_f64 v[85:86], v[94:95], v[85:86]
	v_fma_f64 v[92:93], v[96:97], s[36:37], v[92:93]
	v_add_f64 v[68:69], v[83:84], v[68:69]
	v_fma_f64 v[83:84], v[96:97], s[34:35], v[56:57]
	v_mul_f64 v[94:95], v[64:65], s[2:3]
	v_fma_f64 v[56:57], v[96:97], s[16:17], v[56:57]
	v_add_f64 v[60:61], v[87:88], v[60:61]
	v_fma_f64 v[87:88], v[89:90], s[40:41], v[100:101]
	v_mul_f64 v[96:97], v[64:65], s[14:15]
	v_add_f64 v[70:71], v[92:93], v[70:71]
	v_fma_f64 v[92:93], v[89:90], s[26:27], v[100:101]
	v_add_f64 v[74:75], v[83:84], v[74:75]
	v_fma_f64 v[83:84], v[89:90], s[38:39], v[94:95]
	;; [unrolled: 2-line block ×4, first 2 shown]
	v_mul_f64 v[94:95], v[64:65], s[28:29]
	v_add_f64 v[28:29], v[92:93], v[28:29]
	v_fma_f64 v[92:93], v[89:90], s[34:35], v[96:97]
	v_add_f64 v[62:63], v[83:84], v[62:63]
	v_mul_f64 v[83:84], v[64:65], s[8:9]
	v_add_f64 v[36:37], v[56:57], v[36:37]
	v_add_f64 v[56:57], v[4:5], v[0:1]
	;; [unrolled: 1-line block ×3, first 2 shown]
	v_fma_f64 v[87:88], v[89:90], s[30:31], v[94:95]
	v_mul_f64 v[64:65], v[64:65], s[18:19]
	v_add_f64 v[66:67], v[92:93], v[66:67]
	v_fma_f64 v[92:93], v[89:90], s[36:37], v[94:95]
	v_fma_f64 v[94:95], v[89:90], s[44:45], v[83:84]
	v_add_f64 v[96:97], v[2:3], -v[6:7]
	v_mul_f64 v[100:101], v[56:57], s[28:29]
	v_fma_f64 v[83:84], v[89:90], s[20:21], v[83:84]
	v_add_f64 v[85:86], v[87:88], v[85:86]
	v_fma_f64 v[87:88], v[89:90], s[42:43], v[64:65]
	v_fma_f64 v[64:65], v[89:90], s[22:23], v[64:65]
	v_mul_f64 v[89:90], v[56:57], s[8:9]
	v_add_f64 v[68:69], v[92:93], v[68:69]
	v_add_f64 v[60:61], v[94:95], v[60:61]
	v_fma_f64 v[92:93], v[96:97], s[36:37], v[100:101]
	v_add_f64 v[70:71], v[83:84], v[70:71]
	v_fma_f64 v[83:84], v[96:97], s[30:31], v[100:101]
	v_add_f64 v[74:75], v[87:88], v[74:75]
	v_add_f64 v[30:31], v[64:65], v[30:31]
	v_fma_f64 v[64:65], v[96:97], s[44:45], v[89:90]
	v_fma_f64 v[87:88], v[96:97], s[20:21], v[89:90]
	v_mul_f64 v[89:90], v[56:57], s[24:25]
	v_add_f64 v[58:59], v[92:93], v[58:59]
	v_mul_f64 v[92:93], v[56:57], s[14:15]
	v_add_f64 v[28:29], v[83:84], v[28:29]
	v_mul_f64 v[83:84], v[56:57], s[18:19]
	v_mul_f64 v[56:57], v[56:57], s[2:3]
	v_add_f64 v[62:63], v[64:65], v[62:63]
	v_add_f64 v[36:37], v[87:88], v[36:37]
	v_fma_f64 v[64:65], v[96:97], s[40:41], v[89:90]
	v_fma_f64 v[87:88], v[96:97], s[26:27], v[89:90]
	;; [unrolled: 1-line block ×8, first 2 shown]
	v_add_f64 v[64:65], v[64:65], v[72:73]
	v_add_f64 v[66:67], v[87:88], v[66:67]
	;; [unrolled: 1-line block ×8, first 2 shown]
	v_lshl_add_u32 v70, v91, 3, 0
	s_movk_i32 s0, 0x68
	v_mad_u32_u24 v87, v82, s0, v70
	s_movk_i32 s0, 0xffa0
	v_mad_i32_i24 v93, v82, s0, v87
	ds_write2_b64 v87, v[98:99], v[58:59] offset1:1
	ds_write2_b64 v87, v[62:63], v[64:65] offset0:2 offset1:3
	ds_write2_b64 v87, v[72:73], v[60:61] offset0:4 offset1:5
	;; [unrolled: 1-line block ×5, first 2 shown]
	ds_write_b64 v87, v[28:29] offset:96
	s_waitcnt lgkmcnt(0)
	; wave barrier
	s_waitcnt lgkmcnt(0)
	v_lshl_add_u32 v92, v82, 3, v70
	ds_read2_b64 v[64:67], v93 offset0:130 offset1:169
	ds_read2_b64 v[68:71], v93 offset0:26 offset1:52
	;; [unrolled: 1-line block ×4, first 2 shown]
	v_add_u32_e32 v89, 0x400, v93
	ds_read2_b64 v[56:59], v89 offset0:119 offset1:145
	ds_read_b64 v[85:86], v92
	ds_read_b64 v[83:84], v93 offset:2392
	v_cmp_gt_u32_e64 s[0:1], 13, v82
	s_and_saveexec_b64 s[46:47], s[0:1]
	s_cbranch_execz .LBB0_15
; %bb.14:
	ds_read2_b64 v[28:31], v89 offset0:28 offset1:197
.LBB0_15:
	s_or_b64 exec, exec, s[46:47]
	v_add_f64 v[36:37], v[46:47], v[38:39]
	v_add_f64 v[44:45], v[44:45], -v[52:53]
	v_add_f64 v[46:47], v[54:55], v[46:47]
	v_add_f64 v[32:33], v[32:33], -v[48:49]
	v_add_f64 v[24:25], v[24:25], -v[40:41]
	;; [unrolled: 1-line block ×5, first 2 shown]
	v_add_f64 v[36:37], v[34:35], v[36:37]
	v_mul_f64 v[52:53], v[44:45], s[44:45]
	v_mul_f64 v[94:95], v[44:45], s[34:35]
	;; [unrolled: 1-line block ×6, first 2 shown]
	v_add_f64 v[34:35], v[50:51], v[34:35]
	v_add_f64 v[36:37], v[26:27], v[36:37]
	v_mul_f64 v[48:49], v[32:33], s[22:23]
	v_fma_f64 v[96:97], v[46:47], s[14:15], v[94:95]
	v_fma_f64 v[94:95], v[46:47], s[14:15], -v[94:95]
	v_fma_f64 v[100:101], v[46:47], s[2:3], v[98:99]
	v_fma_f64 v[98:99], v[46:47], s[2:3], -v[98:99]
	;; [unrolled: 2-line block ×3, first 2 shown]
	v_add_f64 v[36:37], v[18:19], v[36:37]
	v_fma_f64 v[108:109], v[46:47], s[24:25], v[106:107]
	v_fma_f64 v[106:107], v[46:47], s[24:25], -v[106:107]
	v_fma_f64 v[110:111], v[46:47], s[28:29], v[44:45]
	v_fma_f64 v[44:45], v[46:47], s[28:29], -v[44:45]
	v_add_f64 v[96:97], v[38:39], v[96:97]
	v_add_f64 v[94:95], v[38:39], v[94:95]
	;; [unrolled: 1-line block ×12, first 2 shown]
	v_mul_f64 v[40:41], v[24:25], s[30:31]
	v_add_f64 v[18:19], v[22:23], v[18:19]
	v_mul_f64 v[20:21], v[16:17], s[22:23]
	v_add_f64 v[10:11], v[14:15], v[10:11]
	;; [unrolled: 2-line block ×4, first 2 shown]
	s_waitcnt lgkmcnt(0)
	; wave barrier
	s_waitcnt lgkmcnt(0)
	v_fma_f64 v[6:7], v[2:3], s[28:29], v[4:5]
	v_add_f64 v[36:37], v[14:15], v[36:37]
	v_fma_f64 v[14:15], v[10:11], s[24:25], v[12:13]
	v_fma_f64 v[12:13], v[10:11], s[24:25], -v[12:13]
	v_fma_f64 v[4:5], v[2:3], s[28:29], -v[4:5]
	v_add_f64 v[36:37], v[22:23], v[36:37]
	v_fma_f64 v[22:23], v[18:19], s[18:19], v[20:21]
	v_fma_f64 v[20:21], v[18:19], s[18:19], -v[20:21]
	v_add_f64 v[36:37], v[42:43], v[36:37]
	v_fma_f64 v[42:43], v[26:27], s[28:29], v[40:41]
	;; [unrolled: 3-line block ×4, first 2 shown]
	v_fma_f64 v[52:53], v[46:47], s[8:9], -v[52:53]
	v_add_f64 v[48:49], v[48:49], v[94:95]
	v_mul_f64 v[94:95], v[32:33], s[40:41]
	v_add_f64 v[50:51], v[50:51], v[96:97]
	v_add_f64 v[54:55], v[38:39], v[54:55]
	;; [unrolled: 1-line block ×4, first 2 shown]
	v_mul_f64 v[44:45], v[32:33], s[34:35]
	v_fma_f64 v[96:97], v[34:35], s[24:25], v[94:95]
	v_fma_f64 v[94:95], v[34:35], s[24:25], -v[94:95]
	v_add_f64 v[40:41], v[40:41], v[48:49]
	v_mul_f64 v[48:49], v[24:25], s[20:21]
	v_add_f64 v[42:43], v[42:43], v[50:51]
	v_fma_f64 v[46:47], v[34:35], s[14:15], v[44:45]
	v_fma_f64 v[44:45], v[34:35], s[14:15], -v[44:45]
	v_add_f64 v[94:95], v[94:95], v[102:103]
	v_add_f64 v[96:97], v[96:97], v[104:105]
	v_fma_f64 v[50:51], v[26:27], s[8:9], v[48:49]
	v_fma_f64 v[48:49], v[26:27], s[8:9], -v[48:49]
	v_add_f64 v[46:47], v[46:47], v[54:55]
	v_add_f64 v[44:45], v[44:45], v[52:53]
	v_mul_f64 v[52:53], v[32:33], s[30:31]
	v_add_f64 v[50:51], v[50:51], v[96:97]
	v_add_f64 v[48:49], v[48:49], v[94:95]
	v_fma_f64 v[54:55], v[34:35], s[28:29], v[52:53]
	v_fma_f64 v[52:53], v[34:35], s[28:29], -v[52:53]
	v_add_f64 v[54:55], v[54:55], v[100:101]
	v_add_f64 v[52:53], v[52:53], v[98:99]
	v_mul_f64 v[98:99], v[32:33], s[6:7]
	v_mul_f64 v[32:33], v[32:33], s[20:21]
	v_fma_f64 v[100:101], v[34:35], s[2:3], v[98:99]
	v_fma_f64 v[98:99], v[34:35], s[2:3], -v[98:99]
	v_fma_f64 v[102:103], v[34:35], s[8:9], v[32:33]
	v_fma_f64 v[32:33], v[34:35], s[8:9], -v[32:33]
	v_mul_f64 v[34:35], v[24:25], s[38:39]
	v_add_f64 v[100:101], v[100:101], v[108:109]
	v_add_f64 v[98:99], v[98:99], v[106:107]
	;; [unrolled: 1-line block ×4, first 2 shown]
	v_fma_f64 v[38:39], v[26:27], s[2:3], v[34:35]
	v_fma_f64 v[34:35], v[26:27], s[2:3], -v[34:35]
	v_add_f64 v[38:39], v[38:39], v[46:47]
	v_add_f64 v[34:35], v[34:35], v[44:45]
	v_mul_f64 v[44:45], v[24:25], s[42:43]
	v_add_f64 v[22:23], v[22:23], v[38:39]
	v_add_f64 v[20:21], v[20:21], v[34:35]
	v_fma_f64 v[46:47], v[26:27], s[18:19], v[44:45]
	v_fma_f64 v[44:45], v[26:27], s[18:19], -v[44:45]
	v_mul_f64 v[34:35], v[16:17], s[20:21]
	v_add_f64 v[14:15], v[14:15], v[22:23]
	v_add_f64 v[12:13], v[12:13], v[20:21]
	;; [unrolled: 1-line block ×4, first 2 shown]
	v_mul_f64 v[52:53], v[24:25], s[34:35]
	v_mul_f64 v[24:25], v[24:25], s[26:27]
	v_fma_f64 v[38:39], v[18:19], s[8:9], v[34:35]
	v_fma_f64 v[34:35], v[18:19], s[8:9], -v[34:35]
	v_add_f64 v[6:7], v[6:7], v[14:15]
	v_fma_f64 v[54:55], v[26:27], s[14:15], v[52:53]
	v_fma_f64 v[52:53], v[26:27], s[14:15], -v[52:53]
	v_fma_f64 v[94:95], v[26:27], s[24:25], v[24:25]
	v_fma_f64 v[24:25], v[26:27], s[24:25], -v[24:25]
	v_mul_f64 v[26:27], v[16:17], s[40:41]
	v_add_f64 v[34:35], v[34:35], v[44:45]
	v_mul_f64 v[44:45], v[16:17], s[36:37]
	v_add_f64 v[38:39], v[38:39], v[46:47]
	v_add_f64 v[54:55], v[54:55], v[100:101]
	;; [unrolled: 1-line block ×5, first 2 shown]
	v_fma_f64 v[32:33], v[18:19], s[24:25], v[26:27]
	v_fma_f64 v[26:27], v[18:19], s[24:25], -v[26:27]
	v_fma_f64 v[46:47], v[18:19], s[28:29], v[44:45]
	v_fma_f64 v[44:45], v[18:19], s[28:29], -v[44:45]
	v_add_f64 v[32:33], v[32:33], v[42:43]
	v_add_f64 v[26:27], v[26:27], v[40:41]
	v_mul_f64 v[40:41], v[16:17], s[38:39]
	v_mul_f64 v[16:17], v[16:17], s[16:17]
	v_add_f64 v[44:45], v[44:45], v[52:53]
	v_add_f64 v[46:47], v[46:47], v[54:55]
	v_fma_f64 v[42:43], v[18:19], s[2:3], v[40:41]
	v_fma_f64 v[40:41], v[18:19], s[2:3], -v[40:41]
	v_add_f64 v[42:43], v[42:43], v[50:51]
	v_add_f64 v[40:41], v[40:41], v[48:49]
	v_fma_f64 v[48:49], v[18:19], s[14:15], v[16:17]
	v_fma_f64 v[16:17], v[18:19], s[14:15], -v[16:17]
	v_mul_f64 v[18:19], v[8:9], s[6:7]
	v_add_f64 v[48:49], v[48:49], v[94:95]
	v_add_f64 v[16:17], v[16:17], v[24:25]
	v_fma_f64 v[20:21], v[10:11], s[2:3], v[18:19]
	v_fma_f64 v[18:19], v[10:11], s[2:3], -v[18:19]
	v_add_f64 v[22:23], v[20:21], v[32:33]
	v_mul_f64 v[20:21], v[8:9], s[34:35]
	v_add_f64 v[18:19], v[18:19], v[26:27]
	v_fma_f64 v[24:25], v[10:11], s[14:15], v[20:21]
	v_fma_f64 v[20:21], v[10:11], s[14:15], -v[20:21]
	v_add_f64 v[24:25], v[24:25], v[38:39]
	v_add_f64 v[26:27], v[20:21], v[34:35]
	v_mul_f64 v[20:21], v[8:9], s[36:37]
	v_fma_f64 v[32:33], v[10:11], s[28:29], v[20:21]
	v_fma_f64 v[20:21], v[10:11], s[28:29], -v[20:21]
	v_add_f64 v[32:33], v[32:33], v[42:43]
	v_add_f64 v[34:35], v[20:21], v[40:41]
	v_mul_f64 v[20:21], v[8:9], s[20:21]
	v_mul_f64 v[8:9], v[8:9], s[22:23]
	v_fma_f64 v[38:39], v[10:11], s[8:9], v[20:21]
	v_fma_f64 v[20:21], v[10:11], s[8:9], -v[20:21]
	v_add_f64 v[38:39], v[38:39], v[46:47]
	v_add_f64 v[40:41], v[20:21], v[44:45]
	v_fma_f64 v[20:21], v[10:11], s[18:19], v[8:9]
	v_fma_f64 v[8:9], v[10:11], s[18:19], -v[8:9]
	v_add_f64 v[42:43], v[20:21], v[48:49]
	v_add_f64 v[20:21], v[4:5], v[12:13]
	v_mul_f64 v[4:5], v[0:1], s[20:21]
	v_mul_f64 v[12:13], v[0:1], s[26:27]
	v_add_f64 v[8:9], v[8:9], v[16:17]
	v_mul_f64 v[16:17], v[0:1], s[16:17]
	v_fma_f64 v[10:11], v[2:3], s[8:9], v[4:5]
	v_fma_f64 v[4:5], v[2:3], s[8:9], -v[4:5]
	v_fma_f64 v[14:15], v[2:3], s[24:25], v[12:13]
	v_fma_f64 v[12:13], v[2:3], s[24:25], -v[12:13]
	v_add_f64 v[10:11], v[10:11], v[22:23]
	v_mul_f64 v[22:23], v[0:1], s[22:23]
	v_mul_f64 v[0:1], v[0:1], s[6:7]
	v_add_f64 v[4:5], v[4:5], v[18:19]
	v_add_f64 v[14:15], v[14:15], v[24:25]
	v_fma_f64 v[18:19], v[2:3], s[14:15], v[16:17]
	v_add_f64 v[12:13], v[12:13], v[26:27]
	v_fma_f64 v[16:17], v[2:3], s[14:15], -v[16:17]
	v_fma_f64 v[24:25], v[2:3], s[18:19], v[22:23]
	v_fma_f64 v[26:27], v[2:3], s[2:3], v[0:1]
	v_fma_f64 v[0:1], v[2:3], s[2:3], -v[0:1]
	v_fma_f64 v[22:23], v[2:3], s[18:19], -v[22:23]
	v_add_f64 v[18:19], v[18:19], v[32:33]
	v_add_f64 v[16:17], v[16:17], v[34:35]
	;; [unrolled: 1-line block ×6, first 2 shown]
	ds_write2_b64 v87, v[36:37], v[6:7] offset1:1
	ds_write2_b64 v87, v[10:11], v[14:15] offset0:2 offset1:3
	ds_write2_b64 v87, v[18:19], v[24:25] offset0:4 offset1:5
	ds_write2_b64 v87, v[26:27], v[0:1] offset0:6 offset1:7
	ds_write2_b64 v87, v[22:23], v[16:17] offset0:8 offset1:9
	ds_write2_b64 v87, v[12:13], v[4:5] offset0:10 offset1:11
	ds_write_b64 v87, v[20:21] offset:96
	s_waitcnt lgkmcnt(0)
	; wave barrier
	s_waitcnt lgkmcnt(0)
	ds_read_b64 v[87:88], v92
	ds_read2_b64 v[0:3], v93 offset0:130 offset1:169
	ds_read2_b64 v[4:7], v93 offset0:26 offset1:52
	;; [unrolled: 1-line block ×5, first 2 shown]
	ds_read_b64 v[89:90], v93 offset:2392
	s_and_saveexec_b64 s[2:3], s[0:1]
	s_cbranch_execz .LBB0_17
; %bb.16:
	v_add_u32_e32 v20, 0x400, v93
	ds_read2_b64 v[20:23], v20 offset0:28 offset1:197
.LBB0_17:
	s_or_b64 exec, exec, s[2:3]
	v_add_u32_e32 v24, -13, v82
	v_cndmask_b32_e64 v95, v24, v82, s[0:1]
	v_mov_b32_e32 v96, 0
	v_lshlrev_b64 v[24:25], 4, v[95:96]
	v_mov_b32_e32 v26, s13
	v_add_co_u32_e64 v36, s[2:3], s12, v24
	v_addc_co_u32_e64 v37, s[2:3], v26, v25, s[2:3]
	v_add_u16_e32 v24, 26, v82
	s_movk_i32 s2, 0x4f
	v_mul_lo_u16_sdwa v25, v24, s2 dst_sel:DWORD dst_unused:UNUSED_PAD src0_sel:BYTE_0 src1_sel:DWORD
	v_lshrrev_b16_e32 v96, 10, v25
	v_mul_lo_u16_e32 v25, 13, v96
	v_sub_u16_e32 v97, v24, v25
	v_mov_b32_e32 v44, 4
	v_lshlrev_b32_sdwa v38, v44, v97 dst_sel:DWORD dst_unused:UNUSED_PAD src0_sel:DWORD src1_sel:BYTE_0
	global_load_dwordx4 v[24:27], v[36:37], off
	global_load_dwordx4 v[32:35], v38, s[12:13]
	v_add_u16_e32 v36, 52, v82
	v_mul_lo_u16_sdwa v37, v36, s2 dst_sel:DWORD dst_unused:UNUSED_PAD src0_sel:BYTE_0 src1_sel:DWORD
	v_lshrrev_b16_e32 v98, 10, v37
	v_mul_lo_u16_e32 v37, 13, v98
	v_sub_u16_e32 v100, v36, v37
	v_add_u16_e32 v36, 0x4e, v82
	v_mul_lo_u16_sdwa v37, v36, s2 dst_sel:DWORD dst_unused:UNUSED_PAD src0_sel:BYTE_0 src1_sel:DWORD
	v_lshrrev_b16_e32 v101, 10, v37
	v_mul_lo_u16_e32 v37, 13, v101
	v_lshlrev_b32_sdwa v45, v44, v100 dst_sel:DWORD dst_unused:UNUSED_PAD src0_sel:DWORD src1_sel:BYTE_0
	v_sub_u16_e32 v102, v36, v37
	v_lshlrev_b32_sdwa v46, v44, v102 dst_sel:DWORD dst_unused:UNUSED_PAD src0_sel:DWORD src1_sel:BYTE_0
	global_load_dwordx4 v[36:39], v45, s[12:13]
	global_load_dwordx4 v[40:43], v46, s[12:13]
	v_add_u16_e32 v45, 0x68, v82
	v_mul_lo_u16_sdwa v46, v45, s2 dst_sel:DWORD dst_unused:UNUSED_PAD src0_sel:BYTE_0 src1_sel:DWORD
	v_lshrrev_b16_e32 v103, 10, v46
	v_mul_lo_u16_e32 v46, 13, v103
	v_sub_u16_e32 v104, v45, v46
	v_add_u16_e32 v46, 0x82, v82
	v_mul_lo_u16_sdwa v47, v46, s2 dst_sel:DWORD dst_unused:UNUSED_PAD src0_sel:BYTE_0 src1_sel:DWORD
	v_lshrrev_b16_e32 v105, 10, v47
	v_mul_lo_u16_e32 v47, 13, v105
	v_lshlrev_b32_sdwa v45, v44, v104 dst_sel:DWORD dst_unused:UNUSED_PAD src0_sel:DWORD src1_sel:BYTE_0
	v_sub_u16_e32 v110, v46, v47
	v_lshlrev_b32_sdwa v46, v44, v110 dst_sel:DWORD dst_unused:UNUSED_PAD src0_sel:DWORD src1_sel:BYTE_0
	global_load_dwordx4 v[48:51], v45, s[12:13]
	global_load_dwordx4 v[52:55], v46, s[12:13]
	v_add_u16_e32 v45, 0x9c, v82
	v_mul_lo_u16_sdwa v46, v45, s2 dst_sel:DWORD dst_unused:UNUSED_PAD src0_sel:BYTE_0 src1_sel:DWORD
	v_lshrrev_b16_e32 v46, 10, v46
	v_mul_lo_u16_e32 v46, 13, v46
	v_sub_u16_e32 v94, v45, v46
	v_lshlrev_b32_sdwa v44, v44, v94 dst_sel:DWORD dst_unused:UNUSED_PAD src0_sel:DWORD src1_sel:BYTE_0
	global_load_dwordx4 v[44:47], v44, s[12:13]
	s_movk_i32 s6, 0xd0
	v_mov_b32_e32 v99, 3
	v_mad_u32_u24 v111, v96, s6, 0
	v_lshlrev_b32_sdwa v116, v99, v97 dst_sel:DWORD dst_unused:UNUSED_PAD src0_sel:DWORD src1_sel:BYTE_0
	v_mov_b32_e32 v106, 0xd0
	v_cmp_lt_u32_e64 s[2:3], 12, v82
	v_mad_u32_u24 v113, v101, s6, 0
	v_lshlrev_b32_sdwa v117, v99, v100 dst_sel:DWORD dst_unused:UNUSED_PAD src0_sel:DWORD src1_sel:BYTE_0
	v_cndmask_b32_e64 v106, 0, v106, s[2:3]
	v_mad_u32_u24 v114, v103, s6, 0
	v_lshlrev_b32_sdwa v118, v99, v102 dst_sel:DWORD dst_unused:UNUSED_PAD src0_sel:DWORD src1_sel:BYTE_0
	v_lshlrev_b32_e32 v91, 3, v91
	v_add_u32_e32 v106, 0, v106
	v_lshlrev_b32_e32 v95, 3, v95
	v_mad_u32_u24 v115, v105, s6, 0
	v_lshlrev_b32_sdwa v119, v99, v104 dst_sel:DWORD dst_unused:UNUSED_PAD src0_sel:DWORD src1_sel:BYTE_0
	v_add3_u32 v95, v106, v95, v91
	v_mad_u32_u24 v112, v98, s6, 0
	v_lshlrev_b32_sdwa v120, v99, v110 dst_sel:DWORD dst_unused:UNUSED_PAD src0_sel:DWORD src1_sel:BYTE_0
	s_waitcnt lgkmcnt(0)
	; wave barrier
	s_waitcnt vmcnt(6) lgkmcnt(0)
	v_mul_f64 v[96:97], v[2:3], v[26:27]
	s_waitcnt vmcnt(5)
	v_mul_f64 v[100:101], v[12:13], v[34:35]
	v_fma_f64 v[97:98], v[66:67], v[24:25], -v[96:97]
	v_fma_f64 v[100:101], v[60:61], v[32:33], -v[100:101]
	v_add3_u32 v96, v111, v116, v91
	s_waitcnt vmcnt(4)
	v_mul_f64 v[102:103], v[14:15], v[38:39]
	s_waitcnt vmcnt(3)
	v_mul_f64 v[104:105], v[16:17], v[42:43]
	v_add_f64 v[110:111], v[85:86], -v[97:98]
	v_add_f64 v[100:101], v[68:69], -v[100:101]
	v_add3_u32 v97, v112, v117, v91
	v_add3_u32 v98, v113, v118, v91
	v_fma_f64 v[102:103], v[62:63], v[36:37], -v[102:103]
	v_fma_f64 v[104:105], v[56:57], v[40:41], -v[104:105]
	v_fma_f64 v[85:86], v[85:86], 2.0, -v[110:111]
	v_fma_f64 v[68:69], v[68:69], 2.0, -v[100:101]
	s_waitcnt vmcnt(2)
	v_mul_f64 v[106:107], v[18:19], v[50:51]
	s_waitcnt vmcnt(1)
	v_mul_f64 v[108:109], v[89:90], v[54:55]
	v_add_f64 v[102:103], v[70:71], -v[102:103]
	v_add_f64 v[104:105], v[72:73], -v[104:105]
	v_fma_f64 v[106:107], v[58:59], v[48:49], -v[106:107]
	v_fma_f64 v[108:109], v[83:84], v[52:53], -v[108:109]
	v_fma_f64 v[70:71], v[70:71], 2.0, -v[102:103]
	v_fma_f64 v[72:73], v[72:73], 2.0, -v[104:105]
	v_add_f64 v[106:107], v[74:75], -v[106:107]
	v_add_f64 v[108:109], v[64:65], -v[108:109]
	v_fma_f64 v[74:75], v[74:75], 2.0, -v[106:107]
	v_fma_f64 v[112:113], v[64:65], 2.0, -v[108:109]
	v_add3_u32 v64, v114, v119, v91
	v_add3_u32 v65, v115, v120, v91
	ds_write2_b64 v95, v[85:86], v[110:111] offset1:13
	ds_write2_b64 v96, v[68:69], v[100:101] offset1:13
	;; [unrolled: 1-line block ×6, first 2 shown]
	s_and_saveexec_b64 s[2:3], s[0:1]
	s_cbranch_execz .LBB0_19
; %bb.18:
	s_waitcnt vmcnt(0)
	v_mul_f64 v[68:69], v[22:23], v[46:47]
	v_lshlrev_b32_sdwa v70, v99, v94 dst_sel:DWORD dst_unused:UNUSED_PAD src0_sel:DWORD src1_sel:BYTE_0
	v_add3_u32 v70, 0, v70, v91
	v_add_u32_e32 v70, 0x800, v70
	v_fma_f64 v[68:69], v[30:31], v[44:45], -v[68:69]
	v_add_f64 v[68:69], v[28:29], -v[68:69]
	v_fma_f64 v[28:29], v[28:29], 2.0, -v[68:69]
	ds_write2_b64 v70, v[28:29], v[68:69] offset0:56 offset1:69
.LBB0_19:
	s_or_b64 exec, exec, s[2:3]
	v_mul_f64 v[26:27], v[66:67], v[26:27]
	v_mul_f64 v[28:29], v[60:61], v[34:35]
	;; [unrolled: 1-line block ×6, first 2 shown]
	s_waitcnt lgkmcnt(0)
	; wave barrier
	s_waitcnt lgkmcnt(0)
	v_fma_f64 v[2:3], v[2:3], v[24:25], v[26:27]
	v_fma_f64 v[12:13], v[12:13], v[32:33], v[28:29]
	;; [unrolled: 1-line block ×6, first 2 shown]
	v_add_f64 v[33:34], v[87:88], -v[2:3]
	v_add_f64 v[35:36], v[4:5], -v[12:13]
	;; [unrolled: 1-line block ×6, first 2 shown]
	v_fma_f64 v[50:51], v[87:88], 2.0, -v[33:34]
	v_fma_f64 v[52:53], v[4:5], 2.0, -v[35:36]
	;; [unrolled: 1-line block ×6, first 2 shown]
	v_lshlrev_b32_e32 v0, 3, v82
	v_add3_u32 v32, 0, v0, v91
	v_add_u32_e32 v12, 0x800, v32
	ds_read2_b64 v[4:7], v93 offset0:26 offset1:52
	ds_read2_b64 v[8:11], v93 offset0:78 offset1:104
	;; [unrolled: 1-line block ×5, first 2 shown]
	ds_read_b64 v[24:25], v92
	ds_read_b64 v[28:29], v93 offset:1040
	ds_read_b64 v[26:27], v32 offset:2496
	s_waitcnt lgkmcnt(0)
	; wave barrier
	s_waitcnt lgkmcnt(0)
	ds_write2_b64 v95, v[50:51], v[33:34] offset1:13
	ds_write2_b64 v96, v[52:53], v[35:36] offset1:13
	;; [unrolled: 1-line block ×6, first 2 shown]
	s_and_saveexec_b64 s[2:3], s[0:1]
	s_cbranch_execz .LBB0_21
; %bb.20:
	s_waitcnt vmcnt(0)
	v_mul_f64 v[30:31], v[30:31], v[46:47]
	v_fma_f64 v[22:23], v[22:23], v[44:45], v[30:31]
	v_mov_b32_e32 v30, 3
	v_lshlrev_b32_sdwa v30, v30, v94 dst_sel:DWORD dst_unused:UNUSED_PAD src0_sel:DWORD src1_sel:BYTE_0
	v_add3_u32 v30, 0, v30, v91
	v_add_u32_e32 v30, 0x800, v30
	v_add_f64 v[22:23], v[20:21], -v[22:23]
	v_fma_f64 v[20:21], v[20:21], 2.0, -v[22:23]
	ds_write2_b64 v30, v[20:21], v[22:23] offset0:56 offset1:69
.LBB0_21:
	s_or_b64 exec, exec, s[2:3]
	s_waitcnt lgkmcnt(0)
	; wave barrier
	s_waitcnt lgkmcnt(0)
	s_and_saveexec_b64 s[0:1], vcc
	s_cbranch_execz .LBB0_23
; %bb.22:
	v_mul_u32_u24_e32 v20, 12, v82
	v_lshlrev_b32_e32 v20, 4, v20
	global_load_dwordx4 v[33:36], v20, s[12:13] offset:320
	global_load_dwordx4 v[42:45], v20, s[12:13] offset:336
	;; [unrolled: 1-line block ×12, first 2 shown]
	ds_read2_b64 v[102:105], v32 offset0:156 offset1:182
	ds_read2_b64 v[72:75], v32 offset0:208 offset1:234
	ds_read2_b64 v[106:109], v93 offset0:78 offset1:104
	v_add_u32_e32 v30, 0x800, v32
	ds_read2_b64 v[110:113], v93 offset0:26 offset1:52
	ds_read_b64 v[22:23], v32 offset:2496
	ds_read_b64 v[62:63], v93 offset:1040
	ds_read_b64 v[20:21], v92
	ds_read2_b64 v[114:117], v30 offset0:4 offset1:30
	s_mov_b32 s8, 0x93053d00
	s_mov_b32 s16, 0x4bc48dbf
	;; [unrolled: 1-line block ×36, first 2 shown]
	s_waitcnt vmcnt(11)
	v_mul_f64 v[30:31], v[16:17], v[35:36]
	s_waitcnt lgkmcnt(6)
	v_mul_f64 v[35:36], v[72:73], v[35:36]
	s_waitcnt vmcnt(10)
	v_mul_f64 v[90:91], v[18:19], v[44:45]
	s_waitcnt vmcnt(9)
	v_mul_f64 v[92:93], v[0:1], v[66:67]
	v_mul_f64 v[44:45], v[74:75], v[44:45]
	s_waitcnt vmcnt(7)
	v_mul_f64 v[120:121], v[28:29], v[48:49]
	s_waitcnt lgkmcnt(2)
	v_mul_f64 v[48:49], v[62:63], v[48:49]
	s_waitcnt vmcnt(4)
	v_mul_f64 v[122:123], v[12:13], v[60:61]
	s_waitcnt lgkmcnt(0)
	v_mul_f64 v[124:125], v[114:115], v[60:61]
	s_waitcnt vmcnt(3)
	v_mul_f64 v[130:131], v[6:7], v[70:71]
	s_waitcnt vmcnt(1)
	v_mul_f64 v[134:135], v[4:5], v[88:89]
	s_waitcnt vmcnt(0)
	v_mul_f64 v[136:137], v[26:27], v[100:101]
	v_mul_f64 v[132:133], v[14:15], v[84:85]
	;; [unrolled: 1-line block ×4, first 2 shown]
	v_fma_f64 v[38:39], v[72:73], v[33:34], v[30:31]
	v_fma_f64 v[40:41], v[16:17], v[33:34], -v[35:36]
	v_fma_f64 v[34:35], v[114:115], v[58:59], v[122:123]
	v_fma_f64 v[114:115], v[110:111], v[86:87], v[134:135]
	;; [unrolled: 1-line block ×3, first 2 shown]
	v_mul_f64 v[118:119], v[2:3], v[96:97]
	v_mul_f64 v[126:127], v[102:103], v[66:67]
	;; [unrolled: 1-line block ×7, first 2 shown]
	v_fma_f64 v[30:31], v[74:75], v[42:43], v[90:91]
	v_fma_f64 v[32:33], v[18:19], v[42:43], -v[44:45]
	v_fma_f64 v[60:61], v[62:63], v[46:47], v[120:121]
	v_fma_f64 v[62:63], v[28:29], v[46:47], -v[48:49]
	v_fma_f64 v[44:45], v[102:103], v[64:65], v[92:93]
	v_fma_f64 v[102:103], v[112:113], v[68:69], v[130:131]
	v_fma_f64 v[28:29], v[116:117], v[82:83], v[132:133]
	v_fma_f64 v[110:111], v[4:5], v[86:87], -v[88:89]
	v_fma_f64 v[26:27], v[26:27], v[98:99], -v[100:101]
	;; [unrolled: 1-line block ×3, first 2 shown]
	v_add_f64 v[124:125], v[114:115], v[22:23]
	v_add_f64 v[88:89], v[114:115], -v[22:23]
	v_mul_f64 v[52:53], v[108:109], v[52:53]
	v_mul_f64 v[56:57], v[106:107], v[56:57]
	v_fma_f64 v[72:73], v[108:109], v[50:51], v[66:67]
	v_fma_f64 v[90:91], v[106:107], v[54:55], v[96:97]
	v_fma_f64 v[108:109], v[6:7], v[68:69], -v[70:71]
	v_fma_f64 v[36:37], v[14:15], v[82:83], -v[84:85]
	v_add_f64 v[122:123], v[102:103], v[28:29]
	v_add_f64 v[82:83], v[110:111], -v[26:27]
	v_add_f64 v[86:87], v[102:103], -v[28:29]
	v_add_f64 v[84:85], v[110:111], v[26:27]
	v_mul_f64 v[4:5], v[124:125], s[8:9]
	v_mul_f64 v[6:7], v[88:89], s[22:23]
	v_fma_f64 v[74:75], v[10:11], v[50:51], -v[52:53]
	v_fma_f64 v[96:97], v[8:9], v[54:55], -v[56:57]
	v_add_f64 v[112:113], v[90:91], v[34:35]
	v_add_f64 v[70:71], v[108:109], -v[36:37]
	v_add_f64 v[68:69], v[108:109], v[36:37]
	v_add_f64 v[58:59], v[90:91], -v[34:35]
	v_mul_f64 v[8:9], v[122:123], s[12:13]
	v_mul_f64 v[10:11], v[86:87], s[24:25]
	v_fma_f64 v[12:13], v[82:83], s[16:17], v[4:5]
	v_fma_f64 v[14:15], v[84:85], s[8:9], v[6:7]
	v_add_f64 v[106:107], v[72:73], v[30:31]
	v_add_f64 v[46:47], v[96:97], -v[42:43]
	v_add_f64 v[56:57], v[72:73], -v[30:31]
	v_add_f64 v[54:55], v[96:97], v[42:43]
	v_mul_f64 v[16:17], v[112:113], s[0:1]
	v_mul_f64 v[18:19], v[58:59], s[20:21]
	v_fma_f64 v[52:53], v[70:71], s[18:19], v[8:9]
	v_fma_f64 v[66:67], v[68:69], s[12:13], v[10:11]
	v_add_f64 v[12:13], v[20:21], v[12:13]
	v_add_f64 v[14:15], v[24:25], v[14:15]
	v_add_f64 v[50:51], v[74:75], -v[32:33]
	v_add_f64 v[48:49], v[74:75], v[32:33]
	v_mul_f64 v[130:131], v[106:107], s[2:3]
	v_mul_f64 v[132:133], v[56:57], s[26:27]
	v_fma_f64 v[98:99], v[46:47], s[14:15], v[16:17]
	v_fma_f64 v[100:101], v[54:55], s[0:1], v[18:19]
	v_add_f64 v[12:13], v[52:53], v[12:13]
	v_add_f64 v[14:15], v[66:67], v[14:15]
	;; [unrolled: 1-line block ×3, first 2 shown]
	v_fma_f64 v[92:93], v[104:105], v[94:95], v[118:119]
	v_add_f64 v[52:53], v[62:63], -v[40:41]
	v_fma_f64 v[118:119], v[50:51], s[6:7], v[130:131]
	v_fma_f64 v[120:121], v[48:49], s[2:3], v[132:133]
	v_fma_f64 v[104:105], v[0:1], v[64:65], -v[126:127]
	v_add_f64 v[12:13], v[98:99], v[12:13]
	v_add_f64 v[14:15], v[100:101], v[14:15]
	v_mul_f64 v[134:135], v[116:117], s[28:29]
	v_fma_f64 v[98:99], v[2:3], v[94:95], -v[128:129]
	v_add_f64 v[100:101], v[44:45], v[92:93]
	v_fma_f64 v[4:5], v[82:83], s[22:23], v[4:5]
	v_add_f64 v[66:67], v[60:61], -v[38:39]
	v_fma_f64 v[8:9], v[70:71], s[24:25], v[8:9]
	v_add_f64 v[2:3], v[118:119], v[12:13]
	v_add_f64 v[12:13], v[120:121], v[14:15]
	v_fma_f64 v[14:15], v[52:53], s[34:35], v[134:135]
	v_add_f64 v[94:95], v[104:105], -v[98:99]
	v_mul_f64 v[126:127], v[100:101], s[36:37]
	v_add_f64 v[4:5], v[20:21], v[4:5]
	v_add_f64 v[64:65], v[62:63], v[40:41]
	v_mul_f64 v[0:1], v[66:67], s[30:31]
	v_fma_f64 v[6:7], v[84:85], s[8:9], -v[6:7]
	v_fma_f64 v[10:11], v[68:69], s[12:13], -v[10:11]
	v_add_f64 v[2:3], v[14:15], v[2:3]
	v_mul_f64 v[128:129], v[88:89], s[20:21]
	v_fma_f64 v[14:15], v[94:95], s[38:39], v[126:127]
	v_add_f64 v[4:5], v[8:9], v[4:5]
	v_fma_f64 v[8:9], v[46:47], s[20:21], v[16:17]
	v_fma_f64 v[118:119], v[64:65], s[28:29], v[0:1]
	v_add_f64 v[6:7], v[24:25], v[6:7]
	v_mul_f64 v[136:137], v[122:123], s[36:37]
	v_mul_f64 v[140:141], v[86:87], s[40:41]
	v_fma_f64 v[138:139], v[84:85], s[0:1], v[128:129]
	v_add_f64 v[2:3], v[14:15], v[2:3]
	v_mul_f64 v[14:15], v[124:125], s[0:1]
	v_add_f64 v[4:5], v[8:9], v[4:5]
	v_fma_f64 v[8:9], v[50:51], s[26:27], v[130:131]
	v_add_f64 v[12:13], v[118:119], v[12:13]
	v_add_f64 v[118:119], v[44:45], -v[92:93]
	v_add_f64 v[6:7], v[10:11], v[6:7]
	v_fma_f64 v[10:11], v[54:55], s[0:1], -v[18:19]
	v_mul_f64 v[142:143], v[112:113], s[2:3]
	v_fma_f64 v[130:131], v[82:83], s[14:15], v[14:15]
	v_add_f64 v[120:121], v[104:105], v[98:99]
	v_add_f64 v[4:5], v[8:9], v[4:5]
	v_mul_f64 v[144:145], v[58:59], s[6:7]
	v_mul_f64 v[16:17], v[118:119], s[40:41]
	v_fma_f64 v[134:135], v[52:53], s[30:31], v[134:135]
	v_add_f64 v[6:7], v[10:11], v[6:7]
	v_fma_f64 v[10:11], v[48:49], s[2:3], -v[132:133]
	v_add_f64 v[8:9], v[20:21], v[130:131]
	v_fma_f64 v[130:131], v[70:71], s[38:39], v[136:137]
	v_add_f64 v[132:133], v[24:25], v[138:139]
	v_fma_f64 v[138:139], v[68:69], s[36:37], v[140:141]
	v_mul_f64 v[146:147], v[106:107], s[8:9]
	v_fma_f64 v[18:19], v[120:121], s[36:37], v[16:17]
	v_fma_f64 v[0:1], v[64:65], s[28:29], -v[0:1]
	v_add_f64 v[6:7], v[10:11], v[6:7]
	v_add_f64 v[4:5], v[134:135], v[4:5]
	;; [unrolled: 1-line block ×3, first 2 shown]
	v_fma_f64 v[130:131], v[46:47], s[26:27], v[142:143]
	v_add_f64 v[10:11], v[138:139], v[132:133]
	v_fma_f64 v[132:133], v[54:55], s[2:3], v[144:145]
	v_mul_f64 v[138:139], v[56:57], s[16:17]
	v_mul_f64 v[134:135], v[116:117], s[12:13]
	v_add_f64 v[148:149], v[0:1], v[6:7]
	v_fma_f64 v[6:7], v[94:95], s[40:41], v[126:127]
	v_fma_f64 v[16:17], v[120:121], s[36:37], -v[16:17]
	v_add_f64 v[8:9], v[130:131], v[8:9]
	v_fma_f64 v[130:131], v[50:51], s[22:23], v[146:147]
	v_add_f64 v[10:11], v[132:133], v[10:11]
	v_fma_f64 v[126:127], v[48:49], s[8:9], v[138:139]
	v_mul_f64 v[132:133], v[66:67], s[24:25]
	v_add_f64 v[0:1], v[18:19], v[12:13]
	v_mul_f64 v[12:13], v[100:101], s[28:29]
	v_fma_f64 v[14:15], v[82:83], s[20:21], v[14:15]
	v_add_f64 v[6:7], v[6:7], v[4:5]
	v_add_f64 v[8:9], v[130:131], v[8:9]
	v_fma_f64 v[130:131], v[52:53], s[18:19], v[134:135]
	v_add_f64 v[10:11], v[126:127], v[10:11]
	v_fma_f64 v[18:19], v[64:65], s[12:13], v[132:133]
	v_add_f64 v[4:5], v[16:17], v[148:149]
	v_fma_f64 v[16:17], v[84:85], s[0:1], -v[128:129]
	v_fma_f64 v[126:127], v[94:95], s[34:35], v[12:13]
	v_mul_f64 v[128:129], v[124:125], s[28:29]
	v_add_f64 v[14:15], v[20:21], v[14:15]
	v_add_f64 v[8:9], v[130:131], v[8:9]
	v_fma_f64 v[130:131], v[70:71], s[40:41], v[136:137]
	v_add_f64 v[18:19], v[18:19], v[10:11]
	v_fma_f64 v[140:141], v[68:69], s[36:37], -v[140:141]
	v_add_f64 v[16:17], v[24:25], v[16:17]
	v_mul_f64 v[136:137], v[118:119], s[30:31]
	v_mul_f64 v[150:151], v[112:113], s[12:13]
	;; [unrolled: 1-line block ×3, first 2 shown]
	v_add_f64 v[10:11], v[126:127], v[8:9]
	v_fma_f64 v[8:9], v[82:83], s[34:35], v[128:129]
	v_mul_f64 v[126:127], v[122:123], s[0:1]
	v_add_f64 v[14:15], v[130:131], v[14:15]
	v_fma_f64 v[130:131], v[46:47], s[6:7], v[142:143]
	v_mul_f64 v[142:143], v[88:89], s[30:31]
	v_add_f64 v[16:17], v[140:141], v[16:17]
	v_fma_f64 v[140:141], v[54:55], s[2:3], -v[144:145]
	v_fma_f64 v[146:147], v[50:51], s[16:17], v[146:147]
	v_add_f64 v[8:9], v[20:21], v[8:9]
	v_fma_f64 v[144:145], v[70:71], s[20:21], v[126:127]
	v_fma_f64 v[148:149], v[120:121], s[28:29], v[136:137]
	v_add_f64 v[14:15], v[130:131], v[14:15]
	v_fma_f64 v[130:131], v[84:85], s[28:29], v[142:143]
	v_fma_f64 v[138:139], v[48:49], s[8:9], -v[138:139]
	v_add_f64 v[16:17], v[140:141], v[16:17]
	v_fma_f64 v[140:141], v[46:47], s[18:19], v[150:151]
	v_fma_f64 v[154:155], v[68:69], s[0:1], v[152:153]
	v_add_f64 v[8:9], v[144:145], v[8:9]
	v_mul_f64 v[144:145], v[106:107], s[36:37]
	v_mul_f64 v[156:157], v[58:59], s[24:25]
	v_add_f64 v[130:131], v[24:25], v[130:131]
	v_add_f64 v[14:15], v[146:147], v[14:15]
	v_fma_f64 v[134:135], v[52:53], s[24:25], v[134:135]
	v_add_f64 v[16:17], v[138:139], v[16:17]
	v_fma_f64 v[132:133], v[64:65], s[12:13], -v[132:133]
	v_add_f64 v[138:139], v[140:141], v[8:9]
	v_fma_f64 v[140:141], v[50:51], s[40:41], v[144:145]
	v_fma_f64 v[146:147], v[54:55], s[12:13], v[156:157]
	v_add_f64 v[130:131], v[154:155], v[130:131]
	v_add_f64 v[8:9], v[148:149], v[18:19]
	v_mul_f64 v[148:149], v[56:57], s[38:39]
	v_add_f64 v[14:15], v[134:135], v[14:15]
	v_mul_f64 v[134:135], v[116:117], s[8:9]
	v_add_f64 v[16:17], v[132:133], v[16:17]
	v_add_f64 v[18:19], v[140:141], v[138:139]
	v_fma_f64 v[128:129], v[82:83], s[30:31], v[128:129]
	v_add_f64 v[130:131], v[146:147], v[130:131]
	v_mul_f64 v[138:139], v[66:67], s[16:17]
	v_fma_f64 v[132:133], v[48:49], s[36:37], v[148:149]
	v_fma_f64 v[12:13], v[94:95], s[30:31], v[12:13]
	;; [unrolled: 1-line block ×3, first 2 shown]
	v_fma_f64 v[136:137], v[120:121], s[28:29], -v[136:137]
	v_fma_f64 v[126:127], v[70:71], s[14:15], v[126:127]
	v_add_f64 v[128:129], v[20:21], v[128:129]
	v_mul_f64 v[154:155], v[124:125], s[36:37]
	v_mul_f64 v[146:147], v[100:101], s[2:3]
	v_add_f64 v[130:131], v[132:133], v[130:131]
	v_fma_f64 v[132:133], v[64:65], s[8:9], v[138:139]
	v_add_f64 v[18:19], v[140:141], v[18:19]
	v_fma_f64 v[140:141], v[84:85], s[28:29], -v[142:143]
	v_add_f64 v[14:15], v[12:13], v[14:15]
	v_add_f64 v[12:13], v[136:137], v[16:17]
	;; [unrolled: 1-line block ×3, first 2 shown]
	v_fma_f64 v[126:127], v[46:47], s[24:25], v[150:151]
	v_fma_f64 v[136:137], v[82:83], s[40:41], v[154:155]
	v_add_f64 v[128:129], v[132:133], v[130:131]
	v_fma_f64 v[130:131], v[68:69], s[0:1], -v[152:153]
	v_add_f64 v[132:133], v[24:25], v[140:141]
	v_mul_f64 v[140:141], v[122:123], s[8:9]
	v_fma_f64 v[142:143], v[94:95], s[6:7], v[146:147]
	v_mul_f64 v[152:153], v[112:113], s[28:29]
	v_add_f64 v[16:17], v[126:127], v[16:17]
	v_fma_f64 v[126:127], v[50:51], s[38:39], v[144:145]
	v_add_f64 v[136:137], v[20:21], v[136:137]
	v_fma_f64 v[134:135], v[52:53], s[16:17], v[134:135]
	v_add_f64 v[130:131], v[130:131], v[132:133]
	v_fma_f64 v[132:133], v[54:55], s[12:13], -v[156:157]
	v_fma_f64 v[144:145], v[70:71], s[16:17], v[140:141]
	v_add_f64 v[18:19], v[142:143], v[18:19]
	v_mul_f64 v[142:143], v[118:119], s[26:27]
	v_add_f64 v[126:127], v[126:127], v[16:17]
	v_mul_f64 v[150:151], v[88:89], s[38:39]
	v_fma_f64 v[138:139], v[64:65], s[8:9], -v[138:139]
	v_mul_f64 v[164:165], v[116:117], s[2:3]
	v_add_f64 v[16:17], v[132:133], v[130:131]
	v_fma_f64 v[130:131], v[48:49], s[36:37], -v[148:149]
	v_add_f64 v[132:133], v[144:145], v[136:137]
	v_fma_f64 v[136:137], v[46:47], s[30:31], v[152:153]
	v_mul_f64 v[144:145], v[106:107], s[12:13]
	v_fma_f64 v[156:157], v[120:121], s[2:3], v[142:143]
	v_add_f64 v[126:127], v[134:135], v[126:127]
	v_fma_f64 v[134:135], v[82:83], s[38:39], v[154:155]
	v_fma_f64 v[158:159], v[84:85], s[36:37], v[150:151]
	v_add_f64 v[130:131], v[130:131], v[16:17]
	v_mul_f64 v[160:161], v[86:87], s[22:23]
	v_add_f64 v[132:133], v[136:137], v[132:133]
	v_fma_f64 v[136:137], v[50:51], s[18:19], v[144:145]
	v_add_f64 v[16:17], v[156:157], v[128:129]
	v_mul_f64 v[154:155], v[100:101], s[0:1]
	v_fma_f64 v[146:147], v[94:95], s[26:27], v[146:147]
	v_fma_f64 v[142:143], v[120:121], s[2:3], -v[142:143]
	v_add_f64 v[130:131], v[138:139], v[130:131]
	v_fma_f64 v[140:141], v[70:71], s[22:23], v[140:141]
	v_add_f64 v[134:135], v[20:21], v[134:135]
	v_add_f64 v[128:129], v[136:137], v[132:133]
	v_fma_f64 v[132:133], v[52:53], s[26:27], v[164:165]
	v_add_f64 v[148:149], v[24:25], v[158:159]
	v_fma_f64 v[158:159], v[68:69], s[8:9], v[160:161]
	v_mul_f64 v[162:163], v[58:59], s[34:35]
	v_fma_f64 v[156:157], v[94:95], s[14:15], v[154:155]
	v_mul_f64 v[166:167], v[56:57], s[24:25]
	v_add_f64 v[134:135], v[140:141], v[134:135]
	v_fma_f64 v[140:141], v[46:47], s[34:35], v[152:153]
	v_add_f64 v[132:133], v[132:133], v[128:129]
	v_add_f64 v[128:129], v[146:147], v[126:127]
	;; [unrolled: 1-line block ×3, first 2 shown]
	v_mul_f64 v[130:131], v[124:125], s[2:3]
	v_mul_f64 v[142:143], v[88:89], s[6:7]
	v_add_f64 v[148:149], v[158:159], v[148:149]
	v_fma_f64 v[158:159], v[54:55], s[28:29], v[162:163]
	v_fma_f64 v[146:147], v[84:85], s[36:37], -v[150:151]
	v_add_f64 v[132:133], v[156:157], v[132:133]
	v_mul_f64 v[152:153], v[122:123], s[28:29]
	v_add_f64 v[134:135], v[140:141], v[134:135]
	v_fma_f64 v[150:151], v[82:83], s[26:27], v[130:131]
	v_fma_f64 v[140:141], v[84:85], s[2:3], v[142:143]
	v_mul_f64 v[156:157], v[86:87], s[30:31]
	v_add_f64 v[136:137], v[158:159], v[148:149]
	v_fma_f64 v[144:145], v[50:51], s[24:25], v[144:145]
	v_fma_f64 v[158:159], v[68:69], s[8:9], -v[160:161]
	v_add_f64 v[146:147], v[24:25], v[146:147]
	v_fma_f64 v[160:161], v[70:71], s[34:35], v[152:153]
	v_add_f64 v[150:151], v[20:21], v[150:151]
	v_mul_f64 v[168:169], v[112:113], s[8:9]
	v_add_f64 v[140:141], v[24:25], v[140:141]
	v_fma_f64 v[170:171], v[68:69], s[28:29], v[156:157]
	v_mul_f64 v[172:173], v[58:59], s[22:23]
	v_add_f64 v[114:115], v[20:21], v[114:115]
	v_add_f64 v[110:111], v[24:25], v[110:111]
	v_fma_f64 v[138:139], v[48:49], s[12:13], v[166:167]
	v_mul_f64 v[148:149], v[66:67], s[6:7]
	v_add_f64 v[134:135], v[144:145], v[134:135]
	v_add_f64 v[144:145], v[158:159], v[146:147]
	v_fma_f64 v[146:147], v[54:55], s[28:29], -v[162:163]
	v_add_f64 v[150:151], v[160:161], v[150:151]
	v_fma_f64 v[158:159], v[46:47], s[16:17], v[168:169]
	v_mul_f64 v[160:161], v[106:107], s[0:1]
	v_add_f64 v[140:141], v[170:171], v[140:141]
	v_fma_f64 v[162:163], v[54:55], s[8:9], v[172:173]
	v_mul_f64 v[170:171], v[56:57], s[14:15]
	v_add_f64 v[102:103], v[102:103], v[114:115]
	v_add_f64 v[108:109], v[108:109], v[110:111]
	;; [unrolled: 1-line block ×3, first 2 shown]
	v_fma_f64 v[138:139], v[64:65], s[2:3], v[148:149]
	v_add_f64 v[144:145], v[146:147], v[144:145]
	v_fma_f64 v[146:147], v[48:49], s[12:13], -v[166:167]
	v_add_f64 v[150:151], v[158:159], v[150:151]
	v_fma_f64 v[158:159], v[50:51], s[20:21], v[160:161]
	v_mul_f64 v[166:167], v[116:117], s[36:37]
	v_add_f64 v[140:141], v[162:163], v[140:141]
	v_fma_f64 v[162:163], v[48:49], s[0:1], v[170:171]
	v_mul_f64 v[174:175], v[66:67], s[40:41]
	v_add_f64 v[90:91], v[90:91], v[102:103]
	v_add_f64 v[96:97], v[96:97], v[108:109]
	;; [unrolled: 1-line block ×3, first 2 shown]
	v_mul_f64 v[138:139], v[118:119], s[20:21]
	v_fma_f64 v[164:165], v[52:53], s[6:7], v[164:165]
	v_add_f64 v[144:145], v[146:147], v[144:145]
	v_fma_f64 v[146:147], v[64:65], s[2:3], -v[148:149]
	v_add_f64 v[148:149], v[158:159], v[150:151]
	v_fma_f64 v[150:151], v[52:53], s[38:39], v[166:167]
	v_add_f64 v[140:141], v[162:163], v[140:141]
	v_fma_f64 v[158:159], v[64:65], s[36:37], v[174:175]
	v_mul_f64 v[162:163], v[100:101], s[12:13]
	v_add_f64 v[72:73], v[72:73], v[90:91]
	v_add_f64 v[74:75], v[74:75], v[96:97]
	v_fma_f64 v[176:177], v[120:121], s[0:1], v[138:139]
	v_add_f64 v[134:135], v[164:165], v[134:135]
	v_mul_f64 v[164:165], v[118:119], s[24:25]
	v_add_f64 v[144:145], v[146:147], v[144:145]
	v_fma_f64 v[146:147], v[94:95], s[20:21], v[154:155]
	v_fma_f64 v[154:155], v[82:83], s[6:7], v[130:131]
	v_add_f64 v[148:149], v[150:151], v[148:149]
	v_add_f64 v[150:151], v[158:159], v[140:141]
	v_fma_f64 v[140:141], v[94:95], s[18:19], v[162:163]
	v_mul_f64 v[124:125], v[124:125], s[12:13]
	v_mul_f64 v[88:89], v[88:89], s[18:19]
	v_add_f64 v[60:61], v[60:61], v[72:73]
	v_add_f64 v[62:63], v[62:63], v[74:75]
	v_fma_f64 v[138:139], v[120:121], s[0:1], -v[138:139]
	v_fma_f64 v[158:159], v[120:121], s[12:13], v[164:165]
	v_add_f64 v[130:131], v[176:177], v[136:137]
	v_add_f64 v[136:137], v[146:147], v[134:135]
	v_fma_f64 v[146:147], v[70:71], s[30:31], v[152:153]
	v_add_f64 v[152:153], v[20:21], v[154:155]
	v_add_f64 v[140:141], v[140:141], v[148:149]
	v_fma_f64 v[142:143], v[84:85], s[2:3], -v[142:143]
	v_fma_f64 v[148:149], v[82:83], s[24:25], v[124:125]
	v_mul_f64 v[122:123], v[122:123], s[2:3]
	v_mul_f64 v[72:73], v[86:87], s[6:7]
	v_fma_f64 v[74:75], v[84:85], s[12:13], v[88:89]
	v_fma_f64 v[82:83], v[82:83], s[18:19], v[124:125]
	v_fma_f64 v[84:85], v[84:85], s[12:13], -v[88:89]
	v_add_f64 v[44:45], v[44:45], v[60:61]
	v_add_f64 v[60:61], v[104:105], v[62:63]
	;; [unrolled: 1-line block ×5, first 2 shown]
	v_fma_f64 v[146:147], v[46:47], s[22:23], v[168:169]
	v_fma_f64 v[150:151], v[68:69], s[28:29], -v[156:157]
	v_add_f64 v[142:143], v[24:25], v[142:143]
	v_add_f64 v[148:149], v[20:21], v[148:149]
	v_fma_f64 v[152:153], v[70:71], s[26:27], v[122:123]
	v_mul_f64 v[112:113], v[112:113], s[36:37]
	v_fma_f64 v[62:63], v[68:69], s[2:3], v[72:73]
	v_add_f64 v[74:75], v[24:25], v[74:75]
	v_fma_f64 v[70:71], v[70:71], s[6:7], v[122:123]
	v_add_f64 v[20:21], v[20:21], v[82:83]
	v_fma_f64 v[68:69], v[68:69], s[2:3], -v[72:73]
	v_add_f64 v[24:25], v[24:25], v[84:85]
	v_mul_f64 v[58:59], v[58:59], s[38:39]
	v_add_f64 v[44:45], v[92:93], v[44:45]
	v_add_f64 v[60:61], v[98:99], v[60:61]
	;; [unrolled: 1-line block ×3, first 2 shown]
	v_fma_f64 v[146:147], v[54:55], s[8:9], -v[172:173]
	v_fma_f64 v[110:111], v[50:51], s[14:15], v[160:161]
	v_add_f64 v[114:115], v[152:153], v[148:149]
	v_fma_f64 v[148:149], v[46:47], s[40:41], v[112:113]
	v_mul_f64 v[106:107], v[106:107], s[28:29]
	v_add_f64 v[62:63], v[62:63], v[74:75]
	v_fma_f64 v[46:47], v[46:47], s[38:39], v[112:113]
	v_mul_f64 v[56:57], v[56:57], s[30:31]
	v_add_f64 v[20:21], v[70:71], v[20:21]
	v_fma_f64 v[70:71], v[54:55], s[36:37], v[58:59]
	v_fma_f64 v[54:55], v[54:55], s[36:37], -v[58:59]
	v_add_f64 v[24:25], v[68:69], v[24:25]
	v_add_f64 v[38:39], v[38:39], v[44:45]
	;; [unrolled: 1-line block ×6, first 2 shown]
	v_fma_f64 v[114:115], v[50:51], s[34:35], v[106:107]
	v_mul_f64 v[116:117], v[116:117], s[0:1]
	v_mul_f64 v[66:67], v[66:67], s[20:21]
	v_fma_f64 v[44:45], v[48:49], s[28:29], v[56:57]
	v_add_f64 v[60:61], v[70:71], v[62:63]
	v_fma_f64 v[50:51], v[50:51], s[30:31], v[106:107]
	v_add_f64 v[20:21], v[46:47], v[20:21]
	v_fma_f64 v[46:47], v[48:49], s[28:29], -v[56:57]
	v_add_f64 v[24:25], v[54:55], v[24:25]
	v_add_f64 v[30:31], v[30:31], v[38:39]
	;; [unrolled: 1-line block ×4, first 2 shown]
	v_fma_f64 v[102:103], v[48:49], s[0:1], -v[170:171]
	v_mul_f64 v[84:85], v[118:119], s[22:23]
	v_add_f64 v[40:41], v[44:45], v[60:61]
	v_fma_f64 v[44:45], v[52:53], s[20:21], v[116:117]
	v_add_f64 v[20:21], v[50:51], v[20:21]
	v_fma_f64 v[48:49], v[64:65], s[0:1], -v[66:67]
	v_add_f64 v[24:25], v[46:47], v[24:25]
	v_mul_f64 v[72:73], v[100:101], s[8:9]
	v_fma_f64 v[38:39], v[64:65], s[0:1], v[66:67]
	v_add_f64 v[30:31], v[34:35], v[30:31]
	v_add_f64 v[32:33], v[42:43], v[32:33]
	v_fma_f64 v[144:145], v[52:53], s[40:41], v[166:167]
	v_add_f64 v[90:91], v[102:103], v[142:143]
	v_fma_f64 v[96:97], v[64:65], s[36:37], -v[174:175]
	v_add_f64 v[102:103], v[114:115], v[110:111]
	v_fma_f64 v[110:111], v[52:53], s[14:15], v[116:117]
	v_add_f64 v[20:21], v[44:45], v[20:21]
	v_fma_f64 v[44:45], v[120:121], s[8:9], -v[84:85]
	v_add_f64 v[24:25], v[48:49], v[24:25]
	v_fma_f64 v[42:43], v[120:121], s[8:9], v[84:85]
	v_add_f64 v[38:39], v[38:39], v[40:41]
	v_fma_f64 v[40:41], v[94:95], s[22:23], v[72:73]
	v_add_f64 v[46:47], v[28:29], v[30:31]
	v_add_f64 v[48:49], v[36:37], v[32:33]
	v_mul_lo_u32 v154, s5, v78
	v_mul_lo_u32 v155, s4, v79
	v_mad_u64_u32 v[78:79], s[4:5], s4, v78, 0
	v_add_f64 v[108:109], v[144:145], v[108:109]
	v_add_f64 v[86:87], v[96:97], v[90:91]
	v_fma_f64 v[74:75], v[94:95], s[24:25], v[162:163]
	v_fma_f64 v[82:83], v[120:121], s[12:13], -v[164:165]
	v_add_f64 v[90:91], v[110:111], v[102:103]
	v_fma_f64 v[58:59], v[94:95], s[16:17], v[72:73]
	v_add3_u32 v79, v79, v155, v154
	v_add_f64 v[36:37], v[44:45], v[24:25]
	v_lshlrev_b64 v[24:25], 4, v[78:79]
	v_add_f64 v[32:33], v[42:43], v[38:39]
	v_add_f64 v[38:39], v[40:41], v[20:21]
	;; [unrolled: 1-line block ×4, first 2 shown]
	v_mov_b32_e32 v26, s11
	v_add_co_u32_e32 v27, vcc, s10, v24
	v_addc_co_u32_e32 v26, vcc, v26, v25, vcc
	v_lshlrev_b64 v[24:25], 4, v[76:77]
	v_add_f64 v[30:31], v[74:75], v[108:109]
	v_add_f64 v[28:29], v[82:83], v[86:87]
	v_add_co_u32_e32 v27, vcc, v27, v24
	v_add_f64 v[34:35], v[58:59], v[90:91]
	v_addc_co_u32_e32 v26, vcc, v26, v25, vcc
	v_lshlrev_b64 v[24:25], 4, v[80:81]
	v_add_co_u32_e32 v24, vcc, v27, v24
	v_addc_co_u32_e32 v25, vcc, v26, v25, vcc
	global_store_dwordx4 v[24:25], v[20:23], off
	global_store_dwordx4 v[24:25], v[36:39], off offset:416
	global_store_dwordx4 v[24:25], v[28:31], off offset:832
	global_store_dwordx4 v[24:25], v[134:137], off offset:1248
	global_store_dwordx4 v[24:25], v[126:129], off offset:1664
	global_store_dwordx4 v[24:25], v[12:15], off offset:2080
	global_store_dwordx4 v[24:25], v[4:7], off offset:2496
	global_store_dwordx4 v[24:25], v[0:3], off offset:2912
	global_store_dwordx4 v[24:25], v[8:11], off offset:3328
	global_store_dwordx4 v[24:25], v[16:19], off offset:3744
	v_add_co_u32_e32 v0, vcc, 0x1000, v24
	v_addc_co_u32_e32 v1, vcc, 0, v25, vcc
	global_store_dwordx4 v[0:1], v[130:133], off offset:64
	global_store_dwordx4 v[0:1], v[138:141], off offset:480
	;; [unrolled: 1-line block ×3, first 2 shown]
.LBB0_23:
	s_endpgm
	.section	.rodata,"a",@progbits
	.p2align	6, 0x0
	.amdhsa_kernel fft_rtc_fwd_len338_factors_13_2_13_wgs_52_tpt_26_halfLds_dp_op_CI_CI_unitstride_sbrr_dirReg
		.amdhsa_group_segment_fixed_size 0
		.amdhsa_private_segment_fixed_size 0
		.amdhsa_kernarg_size 104
		.amdhsa_user_sgpr_count 6
		.amdhsa_user_sgpr_private_segment_buffer 1
		.amdhsa_user_sgpr_dispatch_ptr 0
		.amdhsa_user_sgpr_queue_ptr 0
		.amdhsa_user_sgpr_kernarg_segment_ptr 1
		.amdhsa_user_sgpr_dispatch_id 0
		.amdhsa_user_sgpr_flat_scratch_init 0
		.amdhsa_user_sgpr_private_segment_size 0
		.amdhsa_uses_dynamic_stack 0
		.amdhsa_system_sgpr_private_segment_wavefront_offset 0
		.amdhsa_system_sgpr_workgroup_id_x 1
		.amdhsa_system_sgpr_workgroup_id_y 0
		.amdhsa_system_sgpr_workgroup_id_z 0
		.amdhsa_system_sgpr_workgroup_info 0
		.amdhsa_system_vgpr_workitem_id 0
		.amdhsa_next_free_vgpr 178
		.amdhsa_next_free_sgpr 48
		.amdhsa_reserve_vcc 1
		.amdhsa_reserve_flat_scratch 0
		.amdhsa_float_round_mode_32 0
		.amdhsa_float_round_mode_16_64 0
		.amdhsa_float_denorm_mode_32 3
		.amdhsa_float_denorm_mode_16_64 3
		.amdhsa_dx10_clamp 1
		.amdhsa_ieee_mode 1
		.amdhsa_fp16_overflow 0
		.amdhsa_exception_fp_ieee_invalid_op 0
		.amdhsa_exception_fp_denorm_src 0
		.amdhsa_exception_fp_ieee_div_zero 0
		.amdhsa_exception_fp_ieee_overflow 0
		.amdhsa_exception_fp_ieee_underflow 0
		.amdhsa_exception_fp_ieee_inexact 0
		.amdhsa_exception_int_div_zero 0
	.end_amdhsa_kernel
	.text
.Lfunc_end0:
	.size	fft_rtc_fwd_len338_factors_13_2_13_wgs_52_tpt_26_halfLds_dp_op_CI_CI_unitstride_sbrr_dirReg, .Lfunc_end0-fft_rtc_fwd_len338_factors_13_2_13_wgs_52_tpt_26_halfLds_dp_op_CI_CI_unitstride_sbrr_dirReg
                                        ; -- End function
	.section	.AMDGPU.csdata,"",@progbits
; Kernel info:
; codeLenInByte = 11004
; NumSgprs: 52
; NumVgprs: 178
; ScratchSize: 0
; MemoryBound: 1
; FloatMode: 240
; IeeeMode: 1
; LDSByteSize: 0 bytes/workgroup (compile time only)
; SGPRBlocks: 6
; VGPRBlocks: 44
; NumSGPRsForWavesPerEU: 52
; NumVGPRsForWavesPerEU: 178
; Occupancy: 1
; WaveLimiterHint : 1
; COMPUTE_PGM_RSRC2:SCRATCH_EN: 0
; COMPUTE_PGM_RSRC2:USER_SGPR: 6
; COMPUTE_PGM_RSRC2:TRAP_HANDLER: 0
; COMPUTE_PGM_RSRC2:TGID_X_EN: 1
; COMPUTE_PGM_RSRC2:TGID_Y_EN: 0
; COMPUTE_PGM_RSRC2:TGID_Z_EN: 0
; COMPUTE_PGM_RSRC2:TIDIG_COMP_CNT: 0
	.type	__hip_cuid_4099fbeb43dc8e44,@object ; @__hip_cuid_4099fbeb43dc8e44
	.section	.bss,"aw",@nobits
	.globl	__hip_cuid_4099fbeb43dc8e44
__hip_cuid_4099fbeb43dc8e44:
	.byte	0                               ; 0x0
	.size	__hip_cuid_4099fbeb43dc8e44, 1

	.ident	"AMD clang version 19.0.0git (https://github.com/RadeonOpenCompute/llvm-project roc-6.4.0 25133 c7fe45cf4b819c5991fe208aaa96edf142730f1d)"
	.section	".note.GNU-stack","",@progbits
	.addrsig
	.addrsig_sym __hip_cuid_4099fbeb43dc8e44
	.amdgpu_metadata
---
amdhsa.kernels:
  - .args:
      - .actual_access:  read_only
        .address_space:  global
        .offset:         0
        .size:           8
        .value_kind:     global_buffer
      - .offset:         8
        .size:           8
        .value_kind:     by_value
      - .actual_access:  read_only
        .address_space:  global
        .offset:         16
        .size:           8
        .value_kind:     global_buffer
      - .actual_access:  read_only
        .address_space:  global
        .offset:         24
        .size:           8
        .value_kind:     global_buffer
      - .actual_access:  read_only
        .address_space:  global
        .offset:         32
        .size:           8
        .value_kind:     global_buffer
      - .offset:         40
        .size:           8
        .value_kind:     by_value
      - .actual_access:  read_only
        .address_space:  global
        .offset:         48
        .size:           8
        .value_kind:     global_buffer
      - .actual_access:  read_only
        .address_space:  global
        .offset:         56
        .size:           8
        .value_kind:     global_buffer
      - .offset:         64
        .size:           4
        .value_kind:     by_value
      - .actual_access:  read_only
        .address_space:  global
        .offset:         72
        .size:           8
        .value_kind:     global_buffer
      - .actual_access:  read_only
        .address_space:  global
        .offset:         80
        .size:           8
        .value_kind:     global_buffer
      - .actual_access:  read_only
        .address_space:  global
        .offset:         88
        .size:           8
        .value_kind:     global_buffer
      - .actual_access:  write_only
        .address_space:  global
        .offset:         96
        .size:           8
        .value_kind:     global_buffer
    .group_segment_fixed_size: 0
    .kernarg_segment_align: 8
    .kernarg_segment_size: 104
    .language:       OpenCL C
    .language_version:
      - 2
      - 0
    .max_flat_workgroup_size: 52
    .name:           fft_rtc_fwd_len338_factors_13_2_13_wgs_52_tpt_26_halfLds_dp_op_CI_CI_unitstride_sbrr_dirReg
    .private_segment_fixed_size: 0
    .sgpr_count:     52
    .sgpr_spill_count: 0
    .symbol:         fft_rtc_fwd_len338_factors_13_2_13_wgs_52_tpt_26_halfLds_dp_op_CI_CI_unitstride_sbrr_dirReg.kd
    .uniform_work_group_size: 1
    .uses_dynamic_stack: false
    .vgpr_count:     178
    .vgpr_spill_count: 0
    .wavefront_size: 64
amdhsa.target:   amdgcn-amd-amdhsa--gfx906
amdhsa.version:
  - 1
  - 2
...

	.end_amdgpu_metadata
